;; amdgpu-corpus repo=ROCm/rocSPARSE kind=compiled arch=gfx1250 opt=O3
	.amdgcn_target "amdgcn-amd-amdhsa--gfx1250"
	.amdhsa_code_object_version 6
	.section	.text._ZN9rocsparseL23coomvn_aos_atomic_loopsILj256ELj1EiffffEEvlNS_24const_host_device_scalarIT5_EEPKT1_PKT2_PKT3_PT4_21rocsparse_index_base_b,"axG",@progbits,_ZN9rocsparseL23coomvn_aos_atomic_loopsILj256ELj1EiffffEEvlNS_24const_host_device_scalarIT5_EEPKT1_PKT2_PKT3_PT4_21rocsparse_index_base_b,comdat
	.globl	_ZN9rocsparseL23coomvn_aos_atomic_loopsILj256ELj1EiffffEEvlNS_24const_host_device_scalarIT5_EEPKT1_PKT2_PKT3_PT4_21rocsparse_index_base_b ; -- Begin function _ZN9rocsparseL23coomvn_aos_atomic_loopsILj256ELj1EiffffEEvlNS_24const_host_device_scalarIT5_EEPKT1_PKT2_PKT3_PT4_21rocsparse_index_base_b
	.p2align	8
	.type	_ZN9rocsparseL23coomvn_aos_atomic_loopsILj256ELj1EiffffEEvlNS_24const_host_device_scalarIT5_EEPKT1_PKT2_PKT3_PT4_21rocsparse_index_base_b,@function
_ZN9rocsparseL23coomvn_aos_atomic_loopsILj256ELj1EiffffEEvlNS_24const_host_device_scalarIT5_EEPKT1_PKT2_PKT3_PT4_21rocsparse_index_base_b: ; @_ZN9rocsparseL23coomvn_aos_atomic_loopsILj256ELj1EiffffEEvlNS_24const_host_device_scalarIT5_EEPKT1_PKT2_PKT3_PT4_21rocsparse_index_base_b
; %bb.0:
	s_clause 0x1
	s_load_b64 s[2:3], s[0:1], 0x30
	s_load_b128 s[4:7], s[0:1], 0x0
	s_wait_kmcnt 0x0
	s_bitcmp1_b32 s3, 0
	s_cselect_b32 s3, -1, 0
	s_delay_alu instid0(SALU_CYCLE_1)
	s_and_b32 vcc_lo, exec_lo, s3
	s_cbranch_vccnz .LBB0_2
; %bb.1:
	s_load_b32 s6, s[6:7], 0x0
.LBB0_2:
	s_wait_kmcnt 0x0
	s_cmp_eq_f32 s6, 0
	s_cbranch_scc1 .LBB0_42
; %bb.3:
	s_bfe_u32 s3, ttmp6, 0x4000c
	s_and_b32 s7, ttmp6, 15
	s_add_co_i32 s3, s3, 1
	s_getreg_b32 s8, hwreg(HW_REG_IB_STS2, 6, 4)
	s_mul_i32 s3, ttmp9, s3
	v_dual_mov_b32 v3, 0 :: v_dual_mov_b32 v1, -1
	s_add_co_i32 s7, s7, s3
	s_cmp_eq_u32 s8, 0
	s_cselect_b32 s3, ttmp9, s7
	s_delay_alu instid0(SALU_CYCLE_1) | instskip(SKIP_1) | instid1(VALU_DEP_1)
	v_lshl_or_b32 v2, s3, 8, v0
	s_mov_b32 s3, exec_lo
	v_cmpx_gt_i64_e64 s[4:5], v[2:3]
	s_cbranch_execz .LBB0_5
; %bb.4:
	s_clause 0x1
	s_load_b128 s[8:11], s[0:1], 0x10
	s_load_b64 s[4:5], s[0:1], 0x20
	s_wait_kmcnt 0x0
	v_lshl_add_u64 v[4:5], v[2:3], 3, s[8:9]
	v_lshl_add_u64 v[2:3], v[2:3], 2, s[10:11]
	global_load_b64 v[4:5], v[4:5], off th:TH_LOAD_NT
	s_wait_loadcnt 0x0
	v_subrev_nc_u32_e32 v1, s2, v5
	global_load_b32 v5, v[2:3], off th:TH_LOAD_NT
	global_load_b32 v6, v1, s[4:5] scale_offset
	s_wait_xcnt 0x0
	v_subrev_nc_u32_e32 v1, s2, v4
	s_wait_loadcnt 0x0
	v_mul_f32_e32 v3, v5, v6
.LBB0_5:
	s_or_b32 exec_lo, exec_lo, s3
	v_lshlrev_b32_e32 v2, 2, v0
	s_mov_b32 s2, exec_lo
	s_delay_alu instid0(VALU_DEP_1)
	v_or_b32_e32 v4, 0x400, v2
	ds_store_2addr_stride64_b32 v2, v1, v3 offset1:4
	s_wait_dscnt 0x0
	s_barrier_signal -1
	s_barrier_wait -1
	v_cmpx_ne_u32_e32 0, v0
	s_cbranch_execz .LBB0_9
; %bb.6:
	v_add_nc_u32_e32 v5, -4, v2
	s_mov_b32 s3, exec_lo
	ds_load_b32 v5, v5
	s_wait_dscnt 0x0
	v_cmpx_eq_u32_e64 v1, v5
	s_cbranch_execz .LBB0_8
; %bb.7:
	v_add_nc_u32_e32 v5, -4, v4
	ds_load_b32 v5, v5
	s_wait_dscnt 0x0
	v_add_f32_e32 v3, v3, v5
.LBB0_8:
	s_or_b32 exec_lo, exec_lo, s3
.LBB0_9:
	s_delay_alu instid0(SALU_CYCLE_1) | instskip(NEXT) | instid1(SALU_CYCLE_1)
	s_or_b32 exec_lo, exec_lo, s2
	s_mov_b32 s2, exec_lo
	s_barrier_signal -1
	s_barrier_wait -1
	ds_store_b32 v4, v3
	s_wait_dscnt 0x0
	s_barrier_signal -1
	s_barrier_wait -1
	v_cmpx_lt_u32_e32 1, v0
	s_cbranch_execz .LBB0_13
; %bb.10:
	v_add_nc_u32_e32 v5, -8, v2
	s_mov_b32 s3, exec_lo
	ds_load_b32 v5, v5
	s_wait_dscnt 0x0
	v_cmpx_eq_u32_e64 v1, v5
	s_cbranch_execz .LBB0_12
; %bb.11:
	v_add_nc_u32_e32 v5, -8, v4
	ds_load_b32 v5, v5
	s_wait_dscnt 0x0
	v_add_f32_e32 v3, v3, v5
.LBB0_12:
	s_or_b32 exec_lo, exec_lo, s3
.LBB0_13:
	s_delay_alu instid0(SALU_CYCLE_1) | instskip(NEXT) | instid1(SALU_CYCLE_1)
	s_or_b32 exec_lo, exec_lo, s2
	s_mov_b32 s2, exec_lo
	s_barrier_signal -1
	s_barrier_wait -1
	ds_store_b32 v4, v3
	s_wait_dscnt 0x0
	s_barrier_signal -1
	s_barrier_wait -1
	v_cmpx_lt_u32_e32 3, v0
	;; [unrolled: 26-line block ×3, first 2 shown]
	s_cbranch_execz .LBB0_21
; %bb.18:
	v_subrev_nc_u32_e32 v5, 32, v2
	s_mov_b32 s3, exec_lo
	ds_load_b32 v5, v5
	s_wait_dscnt 0x0
	v_cmpx_eq_u32_e64 v1, v5
	s_cbranch_execz .LBB0_20
; %bb.19:
	v_subrev_nc_u32_e32 v5, 32, v4
	ds_load_b32 v5, v5
	s_wait_dscnt 0x0
	v_add_f32_e32 v3, v3, v5
.LBB0_20:
	s_or_b32 exec_lo, exec_lo, s3
.LBB0_21:
	s_delay_alu instid0(SALU_CYCLE_1) | instskip(NEXT) | instid1(SALU_CYCLE_1)
	s_or_b32 exec_lo, exec_lo, s2
	s_mov_b32 s2, exec_lo
	s_barrier_signal -1
	s_barrier_wait -1
	ds_store_b32 v4, v3
	s_wait_dscnt 0x0
	s_barrier_signal -1
	s_barrier_wait -1
	v_cmpx_lt_u32_e32 15, v0
	s_cbranch_execz .LBB0_25
; %bb.22:
	v_subrev_nc_u32_e32 v5, 64, v2
	s_mov_b32 s3, exec_lo
	ds_load_b32 v5, v5
	s_wait_dscnt 0x0
	v_cmpx_eq_u32_e64 v1, v5
	s_cbranch_execz .LBB0_24
; %bb.23:
	v_subrev_nc_u32_e32 v5, 64, v4
	ds_load_b32 v5, v5
	s_wait_dscnt 0x0
	v_add_f32_e32 v3, v3, v5
.LBB0_24:
	s_or_b32 exec_lo, exec_lo, s3
.LBB0_25:
	s_delay_alu instid0(SALU_CYCLE_1) | instskip(NEXT) | instid1(SALU_CYCLE_1)
	s_or_b32 exec_lo, exec_lo, s2
	s_mov_b32 s2, exec_lo
	s_barrier_signal -1
	s_barrier_wait -1
	ds_store_b32 v4, v3
	s_wait_dscnt 0x0
	s_barrier_signal -1
	s_barrier_wait -1
	v_cmpx_lt_u32_e32 31, v0
	s_cbranch_execz .LBB0_29
; %bb.26:
	v_add_nc_u32_e32 v5, 0xffffff80, v2
	s_mov_b32 s3, exec_lo
	ds_load_b32 v5, v5
	s_wait_dscnt 0x0
	v_cmpx_eq_u32_e64 v1, v5
	s_cbranch_execz .LBB0_28
; %bb.27:
	v_add_nc_u32_e32 v5, 0xffffff80, v4
	ds_load_b32 v5, v5
	s_wait_dscnt 0x0
	v_add_f32_e32 v3, v3, v5
.LBB0_28:
	s_or_b32 exec_lo, exec_lo, s3
.LBB0_29:
	s_delay_alu instid0(SALU_CYCLE_1) | instskip(NEXT) | instid1(SALU_CYCLE_1)
	s_or_b32 exec_lo, exec_lo, s2
	s_mov_b32 s2, exec_lo
	s_barrier_signal -1
	s_barrier_wait -1
	ds_store_b32 v4, v3
	s_wait_dscnt 0x0
	s_barrier_signal -1
	s_barrier_wait -1
	v_cmpx_lt_u32_e32 63, v0
	s_cbranch_execz .LBB0_33
; %bb.30:
	v_add_nc_u32_e32 v5, 0xffffff00, v2
	s_mov_b32 s3, exec_lo
	ds_load_b32 v5, v5
	s_wait_dscnt 0x0
	v_cmpx_eq_u32_e64 v1, v5
	s_cbranch_execz .LBB0_32
; %bb.31:
	v_add_nc_u32_e32 v5, 0xffffff00, v4
	ds_load_b32 v5, v5
	s_wait_dscnt 0x0
	v_add_f32_e32 v3, v3, v5
.LBB0_32:
	s_or_b32 exec_lo, exec_lo, s3
.LBB0_33:
	s_delay_alu instid0(SALU_CYCLE_1)
	s_or_b32 exec_lo, exec_lo, s2
	s_load_b64 s[2:3], s[0:1], 0x28
	s_wait_xcnt 0x0
	s_mov_b32 s0, exec_lo
	s_barrier_signal -1
	s_barrier_wait -1
	ds_store_b32 v4, v3
	s_wait_dscnt 0x0
	s_barrier_signal -1
	s_barrier_wait -1
	v_cmpx_lt_u32_e32 0x7f, v0
	s_cbranch_execz .LBB0_37
; %bb.34:
	v_add_nc_u32_e32 v5, 0xfffffe00, v2
	s_mov_b32 s1, exec_lo
	ds_load_b32 v5, v5
	s_wait_dscnt 0x0
	v_cmpx_eq_u32_e64 v1, v5
	s_cbranch_execz .LBB0_36
; %bb.35:
	v_add_nc_u32_e32 v5, 0xfffffe00, v4
	ds_load_b32 v5, v5
	s_wait_dscnt 0x0
	v_add_f32_e32 v3, v3, v5
.LBB0_36:
	s_or_b32 exec_lo, exec_lo, s1
.LBB0_37:
	s_delay_alu instid0(SALU_CYCLE_1) | instskip(NEXT) | instid1(SALU_CYCLE_1)
	s_or_b32 exec_lo, exec_lo, s0
	s_mov_b32 s1, exec_lo
	s_barrier_signal -1
	s_barrier_wait -1
	ds_store_b32 v4, v3
	s_wait_dscnt 0x0
	s_barrier_signal -1
	s_barrier_wait -1
	v_cmpx_gt_u32_e32 0xff, v0
	s_cbranch_execz .LBB0_40
; %bb.38:
	ds_load_b32 v2, v2 offset:4
	v_cmp_lt_i32_e64 s0, -1, v1
	s_wait_dscnt 0x0
	v_cmp_ne_u32_e32 vcc_lo, v1, v2
	s_and_b32 s0, s0, vcc_lo
	s_delay_alu instid0(SALU_CYCLE_1)
	s_and_b32 exec_lo, exec_lo, s0
	s_cbranch_execz .LBB0_40
; %bb.39:
	v_mul_f32_e32 v2, s6, v3
	s_wait_kmcnt 0x0
	global_atomic_add_f32 v1, v2, s[2:3] scale_offset scope:SCOPE_DEV
.LBB0_40:
	s_wait_xcnt 0x0
	s_or_b32 exec_lo, exec_lo, s1
	v_cmp_eq_u32_e32 vcc_lo, 0xff, v0
	v_cmp_lt_i32_e64 s0, -1, v1
	s_and_b32 s0, vcc_lo, s0
	s_delay_alu instid0(SALU_CYCLE_1)
	s_and_saveexec_b32 s1, s0
	s_cbranch_execz .LBB0_42
; %bb.41:
	v_mul_f32_e32 v0, s6, v3
	s_wait_kmcnt 0x0
	global_atomic_add_f32 v1, v0, s[2:3] scale_offset scope:SCOPE_DEV
.LBB0_42:
	s_endpgm
	.section	.rodata,"a",@progbits
	.p2align	6, 0x0
	.amdhsa_kernel _ZN9rocsparseL23coomvn_aos_atomic_loopsILj256ELj1EiffffEEvlNS_24const_host_device_scalarIT5_EEPKT1_PKT2_PKT3_PT4_21rocsparse_index_base_b
		.amdhsa_group_segment_fixed_size 2048
		.amdhsa_private_segment_fixed_size 0
		.amdhsa_kernarg_size 56
		.amdhsa_user_sgpr_count 2
		.amdhsa_user_sgpr_dispatch_ptr 0
		.amdhsa_user_sgpr_queue_ptr 0
		.amdhsa_user_sgpr_kernarg_segment_ptr 1
		.amdhsa_user_sgpr_dispatch_id 0
		.amdhsa_user_sgpr_kernarg_preload_length 0
		.amdhsa_user_sgpr_kernarg_preload_offset 0
		.amdhsa_user_sgpr_private_segment_size 0
		.amdhsa_wavefront_size32 1
		.amdhsa_uses_dynamic_stack 0
		.amdhsa_enable_private_segment 0
		.amdhsa_system_sgpr_workgroup_id_x 1
		.amdhsa_system_sgpr_workgroup_id_y 0
		.amdhsa_system_sgpr_workgroup_id_z 0
		.amdhsa_system_sgpr_workgroup_info 0
		.amdhsa_system_vgpr_workitem_id 0
		.amdhsa_next_free_vgpr 7
		.amdhsa_next_free_sgpr 12
		.amdhsa_named_barrier_count 0
		.amdhsa_reserve_vcc 1
		.amdhsa_float_round_mode_32 0
		.amdhsa_float_round_mode_16_64 0
		.amdhsa_float_denorm_mode_32 3
		.amdhsa_float_denorm_mode_16_64 3
		.amdhsa_fp16_overflow 0
		.amdhsa_memory_ordered 1
		.amdhsa_forward_progress 1
		.amdhsa_inst_pref_size 11
		.amdhsa_round_robin_scheduling 0
		.amdhsa_exception_fp_ieee_invalid_op 0
		.amdhsa_exception_fp_denorm_src 0
		.amdhsa_exception_fp_ieee_div_zero 0
		.amdhsa_exception_fp_ieee_overflow 0
		.amdhsa_exception_fp_ieee_underflow 0
		.amdhsa_exception_fp_ieee_inexact 0
		.amdhsa_exception_int_div_zero 0
	.end_amdhsa_kernel
	.section	.text._ZN9rocsparseL23coomvn_aos_atomic_loopsILj256ELj1EiffffEEvlNS_24const_host_device_scalarIT5_EEPKT1_PKT2_PKT3_PT4_21rocsparse_index_base_b,"axG",@progbits,_ZN9rocsparseL23coomvn_aos_atomic_loopsILj256ELj1EiffffEEvlNS_24const_host_device_scalarIT5_EEPKT1_PKT2_PKT3_PT4_21rocsparse_index_base_b,comdat
.Lfunc_end0:
	.size	_ZN9rocsparseL23coomvn_aos_atomic_loopsILj256ELj1EiffffEEvlNS_24const_host_device_scalarIT5_EEPKT1_PKT2_PKT3_PT4_21rocsparse_index_base_b, .Lfunc_end0-_ZN9rocsparseL23coomvn_aos_atomic_loopsILj256ELj1EiffffEEvlNS_24const_host_device_scalarIT5_EEPKT1_PKT2_PKT3_PT4_21rocsparse_index_base_b
                                        ; -- End function
	.set _ZN9rocsparseL23coomvn_aos_atomic_loopsILj256ELj1EiffffEEvlNS_24const_host_device_scalarIT5_EEPKT1_PKT2_PKT3_PT4_21rocsparse_index_base_b.num_vgpr, 7
	.set _ZN9rocsparseL23coomvn_aos_atomic_loopsILj256ELj1EiffffEEvlNS_24const_host_device_scalarIT5_EEPKT1_PKT2_PKT3_PT4_21rocsparse_index_base_b.num_agpr, 0
	.set _ZN9rocsparseL23coomvn_aos_atomic_loopsILj256ELj1EiffffEEvlNS_24const_host_device_scalarIT5_EEPKT1_PKT2_PKT3_PT4_21rocsparse_index_base_b.numbered_sgpr, 12
	.set _ZN9rocsparseL23coomvn_aos_atomic_loopsILj256ELj1EiffffEEvlNS_24const_host_device_scalarIT5_EEPKT1_PKT2_PKT3_PT4_21rocsparse_index_base_b.num_named_barrier, 0
	.set _ZN9rocsparseL23coomvn_aos_atomic_loopsILj256ELj1EiffffEEvlNS_24const_host_device_scalarIT5_EEPKT1_PKT2_PKT3_PT4_21rocsparse_index_base_b.private_seg_size, 0
	.set _ZN9rocsparseL23coomvn_aos_atomic_loopsILj256ELj1EiffffEEvlNS_24const_host_device_scalarIT5_EEPKT1_PKT2_PKT3_PT4_21rocsparse_index_base_b.uses_vcc, 1
	.set _ZN9rocsparseL23coomvn_aos_atomic_loopsILj256ELj1EiffffEEvlNS_24const_host_device_scalarIT5_EEPKT1_PKT2_PKT3_PT4_21rocsparse_index_base_b.uses_flat_scratch, 0
	.set _ZN9rocsparseL23coomvn_aos_atomic_loopsILj256ELj1EiffffEEvlNS_24const_host_device_scalarIT5_EEPKT1_PKT2_PKT3_PT4_21rocsparse_index_base_b.has_dyn_sized_stack, 0
	.set _ZN9rocsparseL23coomvn_aos_atomic_loopsILj256ELj1EiffffEEvlNS_24const_host_device_scalarIT5_EEPKT1_PKT2_PKT3_PT4_21rocsparse_index_base_b.has_recursion, 0
	.set _ZN9rocsparseL23coomvn_aos_atomic_loopsILj256ELj1EiffffEEvlNS_24const_host_device_scalarIT5_EEPKT1_PKT2_PKT3_PT4_21rocsparse_index_base_b.has_indirect_call, 0
	.section	.AMDGPU.csdata,"",@progbits
; Kernel info:
; codeLenInByte = 1292
; TotalNumSgprs: 14
; NumVgprs: 7
; ScratchSize: 0
; MemoryBound: 0
; FloatMode: 240
; IeeeMode: 1
; LDSByteSize: 2048 bytes/workgroup (compile time only)
; SGPRBlocks: 0
; VGPRBlocks: 0
; NumSGPRsForWavesPerEU: 14
; NumVGPRsForWavesPerEU: 7
; NamedBarCnt: 0
; Occupancy: 16
; WaveLimiterHint : 1
; COMPUTE_PGM_RSRC2:SCRATCH_EN: 0
; COMPUTE_PGM_RSRC2:USER_SGPR: 2
; COMPUTE_PGM_RSRC2:TRAP_HANDLER: 0
; COMPUTE_PGM_RSRC2:TGID_X_EN: 1
; COMPUTE_PGM_RSRC2:TGID_Y_EN: 0
; COMPUTE_PGM_RSRC2:TGID_Z_EN: 0
; COMPUTE_PGM_RSRC2:TIDIG_COMP_CNT: 0
	.section	.text._ZN9rocsparseL17coomvt_aos_kernelILj1024EiffffEEv20rocsparse_operation_lNS_24const_host_device_scalarIT4_EEPKT0_PKT1_PKT2_PT3_21rocsparse_index_base_b,"axG",@progbits,_ZN9rocsparseL17coomvt_aos_kernelILj1024EiffffEEv20rocsparse_operation_lNS_24const_host_device_scalarIT4_EEPKT0_PKT1_PKT2_PT3_21rocsparse_index_base_b,comdat
	.globl	_ZN9rocsparseL17coomvt_aos_kernelILj1024EiffffEEv20rocsparse_operation_lNS_24const_host_device_scalarIT4_EEPKT0_PKT1_PKT2_PT3_21rocsparse_index_base_b ; -- Begin function _ZN9rocsparseL17coomvt_aos_kernelILj1024EiffffEEv20rocsparse_operation_lNS_24const_host_device_scalarIT4_EEPKT0_PKT1_PKT2_PT3_21rocsparse_index_base_b
	.p2align	8
	.type	_ZN9rocsparseL17coomvt_aos_kernelILj1024EiffffEEv20rocsparse_operation_lNS_24const_host_device_scalarIT4_EEPKT0_PKT1_PKT2_PT3_21rocsparse_index_base_b,@function
_ZN9rocsparseL17coomvt_aos_kernelILj1024EiffffEEv20rocsparse_operation_lNS_24const_host_device_scalarIT4_EEPKT0_PKT1_PKT2_PT3_21rocsparse_index_base_b: ; @_ZN9rocsparseL17coomvt_aos_kernelILj1024EiffffEEv20rocsparse_operation_lNS_24const_host_device_scalarIT4_EEPKT0_PKT1_PKT2_PT3_21rocsparse_index_base_b
; %bb.0:
	s_clause 0x1
	s_load_b64 s[2:3], s[0:1], 0x38
	s_load_b128 s[4:7], s[0:1], 0x8
	s_wait_kmcnt 0x0
	s_bitcmp1_b32 s3, 0
	s_cselect_b32 s3, -1, 0
	s_delay_alu instid0(SALU_CYCLE_1)
	s_and_b32 vcc_lo, exec_lo, s3
	s_cbranch_vccnz .LBB1_2
; %bb.1:
	s_load_b32 s6, s[6:7], 0x0
.LBB1_2:
	s_wait_kmcnt 0x0
	s_cmp_eq_f32 s6, 0
	s_cbranch_scc1 .LBB1_5
; %bb.3:
	s_load_b32 s3, s[0:1], 0x4c
	s_bfe_u32 s7, ttmp6, 0x4000c
	s_and_b32 s8, ttmp6, 15
	s_add_co_i32 s7, s7, 1
	s_getreg_b32 s9, hwreg(HW_REG_IB_STS2, 6, 4)
	s_mul_i32 s7, ttmp9, s7
	v_mov_b32_e32 v1, 0
	s_add_co_i32 s8, s8, s7
	s_wait_kmcnt 0x0
	s_and_b32 s3, s3, 0xffff
	s_cmp_eq_u32 s9, 0
	s_cselect_b32 s7, ttmp9, s8
	s_delay_alu instid0(SALU_CYCLE_1) | instskip(SKIP_1) | instid1(VALU_DEP_1)
	v_mad_u32 v0, s7, s3, v0
	s_mov_b32 s3, exec_lo
	v_cmpx_gt_i64_e64 s[4:5], v[0:1]
	s_cbranch_execz .LBB1_5
; %bb.4:
	s_load_b256 s[8:15], s[0:1], 0x18
	s_wait_kmcnt 0x0
	v_lshl_add_u64 v[2:3], v[0:1], 3, s[8:9]
	v_lshl_add_u64 v[0:1], v[0:1], 2, s[10:11]
	global_load_b64 v[2:3], v[2:3], off
	s_wait_loadcnt 0x0
	v_subrev_nc_u32_e32 v2, s2, v2
	global_load_b32 v4, v[0:1], off
	global_load_b32 v5, v2, s[12:13] scale_offset
	s_wait_xcnt 0x1
	v_subrev_nc_u32_e32 v1, s2, v3
	s_wait_loadcnt 0x1
	v_mul_f32_e32 v0, s6, v4
	s_wait_loadcnt 0x0
	s_delay_alu instid0(VALU_DEP_1)
	v_mul_f32_e32 v0, v0, v5
	global_atomic_add_f32 v1, v0, s[14:15] scale_offset scope:SCOPE_DEV
.LBB1_5:
	s_endpgm
	.section	.rodata,"a",@progbits
	.p2align	6, 0x0
	.amdhsa_kernel _ZN9rocsparseL17coomvt_aos_kernelILj1024EiffffEEv20rocsparse_operation_lNS_24const_host_device_scalarIT4_EEPKT0_PKT1_PKT2_PT3_21rocsparse_index_base_b
		.amdhsa_group_segment_fixed_size 0
		.amdhsa_private_segment_fixed_size 0
		.amdhsa_kernarg_size 320
		.amdhsa_user_sgpr_count 2
		.amdhsa_user_sgpr_dispatch_ptr 0
		.amdhsa_user_sgpr_queue_ptr 0
		.amdhsa_user_sgpr_kernarg_segment_ptr 1
		.amdhsa_user_sgpr_dispatch_id 0
		.amdhsa_user_sgpr_kernarg_preload_length 0
		.amdhsa_user_sgpr_kernarg_preload_offset 0
		.amdhsa_user_sgpr_private_segment_size 0
		.amdhsa_wavefront_size32 1
		.amdhsa_uses_dynamic_stack 0
		.amdhsa_enable_private_segment 0
		.amdhsa_system_sgpr_workgroup_id_x 1
		.amdhsa_system_sgpr_workgroup_id_y 0
		.amdhsa_system_sgpr_workgroup_id_z 0
		.amdhsa_system_sgpr_workgroup_info 0
		.amdhsa_system_vgpr_workitem_id 0
		.amdhsa_next_free_vgpr 6
		.amdhsa_next_free_sgpr 16
		.amdhsa_named_barrier_count 0
		.amdhsa_reserve_vcc 1
		.amdhsa_float_round_mode_32 0
		.amdhsa_float_round_mode_16_64 0
		.amdhsa_float_denorm_mode_32 3
		.amdhsa_float_denorm_mode_16_64 3
		.amdhsa_fp16_overflow 0
		.amdhsa_memory_ordered 1
		.amdhsa_forward_progress 1
		.amdhsa_inst_pref_size 3
		.amdhsa_round_robin_scheduling 0
		.amdhsa_exception_fp_ieee_invalid_op 0
		.amdhsa_exception_fp_denorm_src 0
		.amdhsa_exception_fp_ieee_div_zero 0
		.amdhsa_exception_fp_ieee_overflow 0
		.amdhsa_exception_fp_ieee_underflow 0
		.amdhsa_exception_fp_ieee_inexact 0
		.amdhsa_exception_int_div_zero 0
	.end_amdhsa_kernel
	.section	.text._ZN9rocsparseL17coomvt_aos_kernelILj1024EiffffEEv20rocsparse_operation_lNS_24const_host_device_scalarIT4_EEPKT0_PKT1_PKT2_PT3_21rocsparse_index_base_b,"axG",@progbits,_ZN9rocsparseL17coomvt_aos_kernelILj1024EiffffEEv20rocsparse_operation_lNS_24const_host_device_scalarIT4_EEPKT0_PKT1_PKT2_PT3_21rocsparse_index_base_b,comdat
.Lfunc_end1:
	.size	_ZN9rocsparseL17coomvt_aos_kernelILj1024EiffffEEv20rocsparse_operation_lNS_24const_host_device_scalarIT4_EEPKT0_PKT1_PKT2_PT3_21rocsparse_index_base_b, .Lfunc_end1-_ZN9rocsparseL17coomvt_aos_kernelILj1024EiffffEEv20rocsparse_operation_lNS_24const_host_device_scalarIT4_EEPKT0_PKT1_PKT2_PT3_21rocsparse_index_base_b
                                        ; -- End function
	.set _ZN9rocsparseL17coomvt_aos_kernelILj1024EiffffEEv20rocsparse_operation_lNS_24const_host_device_scalarIT4_EEPKT0_PKT1_PKT2_PT3_21rocsparse_index_base_b.num_vgpr, 6
	.set _ZN9rocsparseL17coomvt_aos_kernelILj1024EiffffEEv20rocsparse_operation_lNS_24const_host_device_scalarIT4_EEPKT0_PKT1_PKT2_PT3_21rocsparse_index_base_b.num_agpr, 0
	.set _ZN9rocsparseL17coomvt_aos_kernelILj1024EiffffEEv20rocsparse_operation_lNS_24const_host_device_scalarIT4_EEPKT0_PKT1_PKT2_PT3_21rocsparse_index_base_b.numbered_sgpr, 16
	.set _ZN9rocsparseL17coomvt_aos_kernelILj1024EiffffEEv20rocsparse_operation_lNS_24const_host_device_scalarIT4_EEPKT0_PKT1_PKT2_PT3_21rocsparse_index_base_b.num_named_barrier, 0
	.set _ZN9rocsparseL17coomvt_aos_kernelILj1024EiffffEEv20rocsparse_operation_lNS_24const_host_device_scalarIT4_EEPKT0_PKT1_PKT2_PT3_21rocsparse_index_base_b.private_seg_size, 0
	.set _ZN9rocsparseL17coomvt_aos_kernelILj1024EiffffEEv20rocsparse_operation_lNS_24const_host_device_scalarIT4_EEPKT0_PKT1_PKT2_PT3_21rocsparse_index_base_b.uses_vcc, 1
	.set _ZN9rocsparseL17coomvt_aos_kernelILj1024EiffffEEv20rocsparse_operation_lNS_24const_host_device_scalarIT4_EEPKT0_PKT1_PKT2_PT3_21rocsparse_index_base_b.uses_flat_scratch, 0
	.set _ZN9rocsparseL17coomvt_aos_kernelILj1024EiffffEEv20rocsparse_operation_lNS_24const_host_device_scalarIT4_EEPKT0_PKT1_PKT2_PT3_21rocsparse_index_base_b.has_dyn_sized_stack, 0
	.set _ZN9rocsparseL17coomvt_aos_kernelILj1024EiffffEEv20rocsparse_operation_lNS_24const_host_device_scalarIT4_EEPKT0_PKT1_PKT2_PT3_21rocsparse_index_base_b.has_recursion, 0
	.set _ZN9rocsparseL17coomvt_aos_kernelILj1024EiffffEEv20rocsparse_operation_lNS_24const_host_device_scalarIT4_EEPKT0_PKT1_PKT2_PT3_21rocsparse_index_base_b.has_indirect_call, 0
	.section	.AMDGPU.csdata,"",@progbits
; Kernel info:
; codeLenInByte = 268
; TotalNumSgprs: 18
; NumVgprs: 6
; ScratchSize: 0
; MemoryBound: 0
; FloatMode: 240
; IeeeMode: 1
; LDSByteSize: 0 bytes/workgroup (compile time only)
; SGPRBlocks: 0
; VGPRBlocks: 0
; NumSGPRsForWavesPerEU: 18
; NumVGPRsForWavesPerEU: 6
; NamedBarCnt: 0
; Occupancy: 16
; WaveLimiterHint : 1
; COMPUTE_PGM_RSRC2:SCRATCH_EN: 0
; COMPUTE_PGM_RSRC2:USER_SGPR: 2
; COMPUTE_PGM_RSRC2:TRAP_HANDLER: 0
; COMPUTE_PGM_RSRC2:TGID_X_EN: 1
; COMPUTE_PGM_RSRC2:TGID_Y_EN: 0
; COMPUTE_PGM_RSRC2:TGID_Z_EN: 0
; COMPUTE_PGM_RSRC2:TIDIG_COMP_CNT: 0
	.section	.text._ZN9rocsparseL26coomvn_aos_segmented_loopsILj256EiffffEEvlT0_NS_24const_host_device_scalarIT4_EEPKS1_PKT1_PKT2_PT3_PS1_PS3_21rocsparse_index_base_b,"axG",@progbits,_ZN9rocsparseL26coomvn_aos_segmented_loopsILj256EiffffEEvlT0_NS_24const_host_device_scalarIT4_EEPKS1_PKT1_PKT2_PT3_PS1_PS3_21rocsparse_index_base_b,comdat
	.globl	_ZN9rocsparseL26coomvn_aos_segmented_loopsILj256EiffffEEvlT0_NS_24const_host_device_scalarIT4_EEPKS1_PKT1_PKT2_PT3_PS1_PS3_21rocsparse_index_base_b ; -- Begin function _ZN9rocsparseL26coomvn_aos_segmented_loopsILj256EiffffEEvlT0_NS_24const_host_device_scalarIT4_EEPKS1_PKT1_PKT2_PT3_PS1_PS3_21rocsparse_index_base_b
	.p2align	8
	.type	_ZN9rocsparseL26coomvn_aos_segmented_loopsILj256EiffffEEvlT0_NS_24const_host_device_scalarIT4_EEPKS1_PKT1_PKT2_PT3_PS1_PS3_21rocsparse_index_base_b,@function
_ZN9rocsparseL26coomvn_aos_segmented_loopsILj256EiffffEEvlT0_NS_24const_host_device_scalarIT4_EEPKS1_PKT1_PKT2_PT3_PS1_PS3_21rocsparse_index_base_b: ; @_ZN9rocsparseL26coomvn_aos_segmented_loopsILj256EiffffEEvlT0_NS_24const_host_device_scalarIT4_EEPKS1_PKT1_PKT2_PT3_PS1_PS3_21rocsparse_index_base_b
; %bb.0:
	s_clause 0x1
	s_load_b64 s[22:23], s[0:1], 0x48
	s_load_b64 s[20:21], s[0:1], 0x10
	s_wait_kmcnt 0x0
	s_bitcmp1_b32 s23, 0
	s_cselect_b32 s2, -1, 0
	s_delay_alu instid0(SALU_CYCLE_1)
	s_and_b32 vcc_lo, exec_lo, s2
	s_cbranch_vccnz .LBB2_2
; %bb.1:
	s_load_b32 s20, s[20:21], 0x0
.LBB2_2:
	s_wait_kmcnt 0x0
	s_cmp_eq_f32 s20, 0
	s_cbranch_scc1 .LBB2_89
; %bb.3:
	s_clause 0x1
	s_load_b96 s[16:18], s[0:1], 0x0
	s_load_b128 s[4:7], s[0:1], 0x18
	s_bfe_u32 s2, ttmp6, 0x4000c
	s_load_b64 s[26:27], s[0:1], 0x28
	s_add_co_i32 s2, s2, 1
	s_and_b32 s3, ttmp6, 15
	s_mul_i32 s2, ttmp9, s2
	s_getreg_b32 s8, hwreg(HW_REG_IB_STS2, 6, 4)
	s_add_co_i32 s3, s3, s2
	s_cmp_eq_u32 s8, 0
	v_dual_mov_b32 v3, 0 :: v_dual_mov_b32 v8, -1
	s_cselect_b32 s19, ttmp9, s3
	s_delay_alu instid0(VALU_DEP_1) | instskip(SKIP_2) | instid1(SALU_CYCLE_1)
	v_mov_b32_e32 v10, v3
	s_wait_kmcnt 0x0
	s_mul_i32 s2, s19, s18
	v_lshl_or_b32 v2, s2, 8, v0
	s_mov_b32 s2, exec_lo
	s_delay_alu instid0(VALU_DEP_1)
	v_lshl_add_u64 v[4:5], v[2:3], 3, s[4:5]
	v_lshl_add_u64 v[6:7], v[2:3], 2, s[6:7]
	v_cmpx_gt_i64_e64 s[16:17], v[2:3]
	s_cbranch_execz .LBB2_5
; %bb.4:
	global_load_b64 v[8:9], v[4:5], off th:TH_LOAD_NT
	s_ashr_i32 s23, s22, 31
	s_delay_alu instid0(SALU_CYCLE_1) | instskip(SKIP_3) | instid1(VALU_DEP_2)
	s_lshl_b64 s[4:5], s[22:23], 2
	s_wait_loadcnt 0x0
	v_dual_mov_b32 v10, v9 :: v_dual_ashrrev_i32 v11, 31, v9
	v_subrev_nc_u32_e32 v8, s22, v8
	v_lshl_add_u64 v[10:11], v[10:11], 2, s[26:27]
	s_delay_alu instid0(VALU_DEP_1)
	v_sub_nc_u64_e64 v[10:11], v[10:11], s[4:5]
	global_load_b32 v1, v[6:7], off th:TH_LOAD_NT
	global_load_b32 v9, v[10:11], off
	s_wait_loadcnt 0x0
	v_mul_f32_e32 v10, v1, v9
.LBB2_5:
	s_or_b32 exec_lo, exec_lo, s2
	v_lshlrev_b32_e32 v1, 2, v0
	v_cmp_eq_u32_e64 s2, 0, v0
	v_cmp_ne_u32_e64 s3, 0, v0
	s_delay_alu instid0(VALU_DEP_3)
	v_or_b32_e32 v9, 0x400, v1
	v_add_nc_u32_e32 v11, -4, v1
	ds_store_2addr_stride64_b32 v1, v8, v10 offset1:4
	s_wait_dscnt 0x0
	s_barrier_signal -1
	s_barrier_wait -1
	s_and_saveexec_b32 s4, s3
	s_cbranch_execz .LBB2_9
; %bb.6:
	ds_load_b32 v12, v11
	s_mov_b32 s5, exec_lo
	s_wait_dscnt 0x0
	v_cmpx_eq_u32_e64 v8, v12
	s_cbranch_execz .LBB2_8
; %bb.7:
	v_add_nc_u32_e32 v12, -4, v9
	ds_load_b32 v12, v12
	s_wait_dscnt 0x0
	v_add_f32_e32 v10, v10, v12
.LBB2_8:
	s_or_b32 exec_lo, exec_lo, s5
.LBB2_9:
	s_delay_alu instid0(SALU_CYCLE_1)
	s_or_b32 exec_lo, exec_lo, s4
	v_cmp_lt_u32_e64 s4, 1, v0
	v_add_nc_u32_e32 v12, -8, v1
	s_barrier_signal -1
	s_barrier_wait -1
	ds_store_b32 v9, v10
	s_wait_dscnt 0x0
	s_barrier_signal -1
	s_barrier_wait -1
	s_and_saveexec_b32 s5, s4
	s_cbranch_execz .LBB2_13
; %bb.10:
	ds_load_b32 v13, v12
	s_mov_b32 s6, exec_lo
	s_wait_dscnt 0x0
	v_cmpx_eq_u32_e64 v8, v13
	s_cbranch_execz .LBB2_12
; %bb.11:
	v_add_nc_u32_e32 v13, -8, v9
	ds_load_b32 v13, v13
	s_wait_dscnt 0x0
	v_add_f32_e32 v10, v10, v13
.LBB2_12:
	s_or_b32 exec_lo, exec_lo, s6
.LBB2_13:
	s_delay_alu instid0(SALU_CYCLE_1)
	s_or_b32 exec_lo, exec_lo, s5
	v_cmp_lt_u32_e64 s5, 3, v0
	v_add_nc_u32_e32 v13, -16, v1
	s_barrier_signal -1
	s_barrier_wait -1
	ds_store_b32 v9, v10
	s_wait_dscnt 0x0
	s_barrier_signal -1
	s_barrier_wait -1
	s_and_saveexec_b32 s6, s5
	s_cbranch_execz .LBB2_17
; %bb.14:
	ds_load_b32 v14, v13
	s_mov_b32 s7, exec_lo
	s_wait_dscnt 0x0
	v_cmpx_eq_u32_e64 v8, v14
	s_cbranch_execz .LBB2_16
; %bb.15:
	v_add_nc_u32_e32 v14, -16, v9
	ds_load_b32 v14, v14
	s_wait_dscnt 0x0
	v_add_f32_e32 v10, v10, v14
.LBB2_16:
	s_or_b32 exec_lo, exec_lo, s7
.LBB2_17:
	s_delay_alu instid0(SALU_CYCLE_1)
	s_or_b32 exec_lo, exec_lo, s6
	v_cmp_lt_u32_e64 s6, 7, v0
	v_subrev_nc_u32_e32 v14, 32, v1
	s_barrier_signal -1
	s_barrier_wait -1
	ds_store_b32 v9, v10
	s_wait_dscnt 0x0
	s_barrier_signal -1
	s_barrier_wait -1
	s_and_saveexec_b32 s7, s6
	s_cbranch_execz .LBB2_21
; %bb.18:
	ds_load_b32 v15, v14
	s_mov_b32 s8, exec_lo
	s_wait_dscnt 0x0
	v_cmpx_eq_u32_e64 v8, v15
	s_cbranch_execz .LBB2_20
; %bb.19:
	v_subrev_nc_u32_e32 v15, 32, v9
	ds_load_b32 v15, v15
	s_wait_dscnt 0x0
	v_add_f32_e32 v10, v10, v15
.LBB2_20:
	s_or_b32 exec_lo, exec_lo, s8
.LBB2_21:
	s_delay_alu instid0(SALU_CYCLE_1)
	s_or_b32 exec_lo, exec_lo, s7
	v_cmp_lt_u32_e64 s7, 15, v0
	v_subrev_nc_u32_e32 v15, 64, v1
	s_barrier_signal -1
	s_barrier_wait -1
	ds_store_b32 v9, v10
	s_wait_dscnt 0x0
	s_barrier_signal -1
	s_barrier_wait -1
	s_and_saveexec_b32 s8, s7
	s_cbranch_execz .LBB2_25
; %bb.22:
	ds_load_b32 v16, v15
	s_mov_b32 s9, exec_lo
	s_wait_dscnt 0x0
	v_cmpx_eq_u32_e64 v8, v16
	s_cbranch_execz .LBB2_24
; %bb.23:
	v_subrev_nc_u32_e32 v16, 64, v9
	ds_load_b32 v16, v16
	s_wait_dscnt 0x0
	v_add_f32_e32 v10, v10, v16
.LBB2_24:
	s_or_b32 exec_lo, exec_lo, s9
.LBB2_25:
	s_delay_alu instid0(SALU_CYCLE_1)
	s_or_b32 exec_lo, exec_lo, s8
	v_cmp_lt_u32_e64 s8, 31, v0
	v_add_nc_u32_e32 v16, 0xffffff80, v1
	s_barrier_signal -1
	s_barrier_wait -1
	ds_store_b32 v9, v10
	s_wait_dscnt 0x0
	s_barrier_signal -1
	s_barrier_wait -1
	s_and_saveexec_b32 s9, s8
	s_cbranch_execz .LBB2_29
; %bb.26:
	ds_load_b32 v17, v16
	s_mov_b32 s10, exec_lo
	s_wait_dscnt 0x0
	v_cmpx_eq_u32_e64 v8, v17
	s_cbranch_execz .LBB2_28
; %bb.27:
	v_add_nc_u32_e32 v17, 0xffffff80, v9
	ds_load_b32 v17, v17
	s_wait_dscnt 0x0
	v_add_f32_e32 v10, v10, v17
.LBB2_28:
	s_or_b32 exec_lo, exec_lo, s10
.LBB2_29:
	s_delay_alu instid0(SALU_CYCLE_1)
	s_or_b32 exec_lo, exec_lo, s9
	v_cmp_lt_u32_e64 s9, 63, v0
	v_add_nc_u32_e32 v17, 0xffffff00, v1
	s_barrier_signal -1
	s_barrier_wait -1
	ds_store_b32 v9, v10
	s_wait_dscnt 0x0
	s_barrier_signal -1
	s_barrier_wait -1
	s_and_saveexec_b32 s10, s9
	s_cbranch_execz .LBB2_33
; %bb.30:
	ds_load_b32 v18, v17
	s_mov_b32 s11, exec_lo
	s_wait_dscnt 0x0
	v_cmpx_eq_u32_e64 v8, v18
	s_cbranch_execz .LBB2_32
; %bb.31:
	v_add_nc_u32_e32 v18, 0xffffff00, v9
	ds_load_b32 v18, v18
	s_wait_dscnt 0x0
	v_add_f32_e32 v10, v10, v18
.LBB2_32:
	s_or_b32 exec_lo, exec_lo, s11
.LBB2_33:
	s_delay_alu instid0(SALU_CYCLE_1)
	s_or_b32 exec_lo, exec_lo, s10
	s_load_b64 s[24:25], s[0:1], 0x30
	v_cmp_lt_u32_e64 s10, 0x7f, v0
	v_add_nc_u32_e32 v18, 0xfffffe00, v1
	s_barrier_signal -1
	s_barrier_wait -1
	ds_store_b32 v9, v10
	s_wait_dscnt 0x0
	s_barrier_signal -1
	s_barrier_wait -1
	s_and_saveexec_b32 s11, s10
	s_cbranch_execz .LBB2_37
; %bb.34:
	ds_load_b32 v19, v18
	s_mov_b32 s12, exec_lo
	s_wait_dscnt 0x0
	v_cmpx_eq_u32_e64 v8, v19
	s_cbranch_execz .LBB2_36
; %bb.35:
	v_add_nc_u32_e32 v19, 0xfffffe00, v9
	ds_load_b32 v19, v19
	s_wait_dscnt 0x0
	v_add_f32_e32 v10, v10, v19
.LBB2_36:
	s_or_b32 exec_lo, exec_lo, s12
.LBB2_37:
	s_delay_alu instid0(SALU_CYCLE_1)
	s_or_b32 exec_lo, exec_lo, s11
	v_cmp_gt_u32_e64 s11, 0xff, v0
	s_barrier_signal -1
	s_barrier_wait -1
	ds_store_b32 v9, v10
	s_wait_dscnt 0x0
	s_barrier_signal -1
	s_barrier_wait -1
	s_and_saveexec_b32 s13, s11
	s_cbranch_execz .LBB2_40
; %bb.38:
	ds_load_b32 v19, v1 offset:4
	v_cmp_lt_i32_e64 s12, -1, v8
	s_wait_dscnt 0x0
	v_cmp_ne_u32_e32 vcc_lo, v8, v19
	s_and_b32 s12, s12, vcc_lo
	s_delay_alu instid0(SALU_CYCLE_1)
	s_and_b32 exec_lo, exec_lo, s12
	s_cbranch_execz .LBB2_40
; %bb.39:
	s_wait_kmcnt 0x0
	global_load_b32 v19, v8, s[24:25] scale_offset
	s_wait_loadcnt 0x0
	v_fmac_f32_e32 v19, s20, v10
	global_store_b32 v8, v19, s[24:25] scale_offset
.LBB2_40:
	s_wait_xcnt 0x0
	s_or_b32 exec_lo, exec_lo, s13
	s_load_b128 s[12:15], s[0:1], 0x38
	s_cmp_lt_i32 s18, 2
	s_cbranch_scc1 .LBB2_87
; %bb.41:
	v_add_nc_u64_e32 v[6:7], 0x400, v[6:7]
	v_add_nc_u64_e32 v[4:5], 0x800, v[4:5]
	;; [unrolled: 1-line block ×3, first 2 shown]
	s_ashr_i32 s23, s22, 31
	v_dual_add_nc_u32 v19, -4, v9 :: v_dual_add_nc_u32 v20, -8, v9
	v_dual_add_nc_u32 v21, -16, v9 :: v_dual_mov_b32 v27, 0
	v_subrev_nc_u32_e32 v22, 32, v9
	v_subrev_nc_u32_e32 v23, 64, v9
	v_add_nc_u32_e32 v24, 0xffffff80, v9
	v_add_nc_u32_e32 v25, 0xffffff00, v9
	;; [unrolled: 1-line block ×3, first 2 shown]
	s_wait_xcnt 0x0
	s_lshl_b64 s[0:1], s[22:23], 2
	s_delay_alu instid0(SALU_CYCLE_1)
	s_sub_nc_u64 s[26:27], s[26:27], s[0:1]
	s_add_co_i32 s1, s18, -1
	s_branch .LBB2_43
.LBB2_42:                               ;   in Loop: Header=BB2_43 Depth=1
	s_wait_xcnt 0x0
	s_or_b32 exec_lo, exec_lo, s18
	v_add_nc_u64_e32 v[6:7], 0x400, v[6:7]
	v_add_nc_u64_e32 v[4:5], 0x800, v[4:5]
	;; [unrolled: 1-line block ×3, first 2 shown]
	s_add_co_i32 s1, s1, -1
	s_delay_alu instid0(SALU_CYCLE_1)
	s_cmp_eq_u32 s1, 0
	s_cbranch_scc1 .LBB2_87
.LBB2_43:                               ; =>This Inner Loop Header: Depth=1
	v_dual_mov_b32 v8, -1 :: v_dual_mov_b32 v10, 0
	s_mov_b32 s0, exec_lo
	s_delay_alu instid0(VALU_DEP_2)
	v_cmpx_gt_i64_e64 s[16:17], v[2:3]
	s_cbranch_execz .LBB2_45
; %bb.44:                               ;   in Loop: Header=BB2_43 Depth=1
	global_load_b64 v[28:29], v[4:5], off th:TH_LOAD_NT
	global_load_b32 v10, v[6:7], off th:TH_LOAD_NT
	s_wait_loadcnt 0x1
	global_load_b32 v29, v29, s[26:27] scale_offset
	v_subrev_nc_u32_e32 v8, s22, v28
	s_wait_loadcnt 0x0
	v_mul_f32_e32 v10, v10, v29
.LBB2_45:                               ;   in Loop: Header=BB2_43 Depth=1
	s_wait_xcnt 0x0
	s_or_b32 exec_lo, exec_lo, s0
	s_and_saveexec_b32 s0, s2
	s_cbranch_execz .LBB2_52
; %bb.46:                               ;   in Loop: Header=BB2_43 Depth=1
	ds_load_b32 v28, v27 offset:1020
	s_mov_b32 s18, exec_lo
	s_wait_dscnt 0x0
	v_cmpx_ne_u32_e64 v8, v28
	s_xor_b32 s18, exec_lo, s18
	s_cbranch_execz .LBB2_49
; %bb.47:                               ;   in Loop: Header=BB2_43 Depth=1
	v_cmp_gt_i32_e32 vcc_lo, 0, v28
	s_cbranch_vccnz .LBB2_49
; %bb.48:                               ;   in Loop: Header=BB2_43 Depth=1
	s_wait_kmcnt 0x0
	global_load_b32 v29, v28, s[24:25] scale_offset
	ds_load_b32 v30, v27 offset:2044
	s_wait_loadcnt_dscnt 0x0
	v_fmac_f32_e32 v29, s20, v30
	global_store_b32 v28, v29, s[24:25] scale_offset
.LBB2_49:                               ;   in Loop: Header=BB2_43 Depth=1
	s_wait_xcnt 0x0
	s_and_not1_saveexec_b32 s18, s18
	s_cbranch_execz .LBB2_51
; %bb.50:                               ;   in Loop: Header=BB2_43 Depth=1
	ds_load_b32 v28, v27 offset:2044
	s_wait_dscnt 0x0
	v_add_f32_e32 v10, v10, v28
.LBB2_51:                               ;   in Loop: Header=BB2_43 Depth=1
	s_or_b32 exec_lo, exec_lo, s18
.LBB2_52:                               ;   in Loop: Header=BB2_43 Depth=1
	s_delay_alu instid0(SALU_CYCLE_1)
	s_or_b32 exec_lo, exec_lo, s0
	s_wait_storecnt 0x0
	s_barrier_signal -1
	s_barrier_wait -1
	ds_store_b32 v1, v8
	ds_store_b32 v9, v10
	s_wait_dscnt 0x0
	s_barrier_signal -1
	s_barrier_wait -1
	s_and_saveexec_b32 s0, s3
	s_cbranch_execz .LBB2_56
; %bb.53:                               ;   in Loop: Header=BB2_43 Depth=1
	ds_load_b32 v28, v11
	s_mov_b32 s18, exec_lo
	s_wait_dscnt 0x0
	v_cmpx_eq_u32_e64 v8, v28
	s_cbranch_execz .LBB2_55
; %bb.54:                               ;   in Loop: Header=BB2_43 Depth=1
	ds_load_b32 v28, v19
	s_wait_dscnt 0x0
	v_add_f32_e32 v10, v10, v28
.LBB2_55:                               ;   in Loop: Header=BB2_43 Depth=1
	s_or_b32 exec_lo, exec_lo, s18
.LBB2_56:                               ;   in Loop: Header=BB2_43 Depth=1
	s_delay_alu instid0(SALU_CYCLE_1)
	s_or_b32 exec_lo, exec_lo, s0
	s_barrier_signal -1
	s_barrier_wait -1
	ds_store_b32 v9, v10
	s_wait_dscnt 0x0
	s_barrier_signal -1
	s_barrier_wait -1
	s_and_saveexec_b32 s0, s4
	s_cbranch_execz .LBB2_60
; %bb.57:                               ;   in Loop: Header=BB2_43 Depth=1
	ds_load_b32 v28, v12
	s_mov_b32 s18, exec_lo
	s_wait_dscnt 0x0
	v_cmpx_eq_u32_e64 v8, v28
	s_cbranch_execz .LBB2_59
; %bb.58:                               ;   in Loop: Header=BB2_43 Depth=1
	ds_load_b32 v28, v20
	s_wait_dscnt 0x0
	v_add_f32_e32 v10, v10, v28
.LBB2_59:                               ;   in Loop: Header=BB2_43 Depth=1
	s_or_b32 exec_lo, exec_lo, s18
.LBB2_60:                               ;   in Loop: Header=BB2_43 Depth=1
	s_delay_alu instid0(SALU_CYCLE_1)
	s_or_b32 exec_lo, exec_lo, s0
	s_barrier_signal -1
	s_barrier_wait -1
	;; [unrolled: 23-line block ×8, first 2 shown]
	ds_store_b32 v9, v10
	s_wait_dscnt 0x0
	s_barrier_signal -1
	s_barrier_wait -1
	s_and_saveexec_b32 s18, s11
	s_cbranch_execz .LBB2_42
; %bb.85:                               ;   in Loop: Header=BB2_43 Depth=1
	ds_load_b32 v28, v1 offset:4
	v_cmp_lt_i32_e64 s0, -1, v8
	s_wait_dscnt 0x0
	v_cmp_ne_u32_e32 vcc_lo, v8, v28
	s_and_b32 s0, s0, vcc_lo
	s_delay_alu instid0(SALU_CYCLE_1)
	s_and_b32 exec_lo, exec_lo, s0
	s_cbranch_execz .LBB2_42
; %bb.86:                               ;   in Loop: Header=BB2_43 Depth=1
	s_wait_kmcnt 0x0
	global_load_b32 v28, v8, s[24:25] scale_offset
	s_wait_loadcnt 0x0
	v_fmac_f32_e32 v28, s20, v10
	global_store_b32 v8, v28, s[24:25] scale_offset
	s_branch .LBB2_42
.LBB2_87:
	s_wait_xcnt 0x0
	s_mov_b32 s0, exec_lo
	v_cmpx_eq_u32_e32 0xff, v0
	s_cbranch_execz .LBB2_89
; %bb.88:
	v_dual_mov_b32 v0, s19 :: v_dual_mul_f32 v1, s20, v10
	s_wait_kmcnt 0x0
	s_clause 0x1
	global_store_b32 v0, v8, s[12:13] scale_offset th:TH_STORE_NT
	global_store_b32 v0, v1, s[14:15] scale_offset th:TH_STORE_NT
.LBB2_89:
	s_endpgm
	.section	.rodata,"a",@progbits
	.p2align	6, 0x0
	.amdhsa_kernel _ZN9rocsparseL26coomvn_aos_segmented_loopsILj256EiffffEEvlT0_NS_24const_host_device_scalarIT4_EEPKS1_PKT1_PKT2_PT3_PS1_PS3_21rocsparse_index_base_b
		.amdhsa_group_segment_fixed_size 2048
		.amdhsa_private_segment_fixed_size 0
		.amdhsa_kernarg_size 80
		.amdhsa_user_sgpr_count 2
		.amdhsa_user_sgpr_dispatch_ptr 0
		.amdhsa_user_sgpr_queue_ptr 0
		.amdhsa_user_sgpr_kernarg_segment_ptr 1
		.amdhsa_user_sgpr_dispatch_id 0
		.amdhsa_user_sgpr_kernarg_preload_length 0
		.amdhsa_user_sgpr_kernarg_preload_offset 0
		.amdhsa_user_sgpr_private_segment_size 0
		.amdhsa_wavefront_size32 1
		.amdhsa_uses_dynamic_stack 0
		.amdhsa_enable_private_segment 0
		.amdhsa_system_sgpr_workgroup_id_x 1
		.amdhsa_system_sgpr_workgroup_id_y 0
		.amdhsa_system_sgpr_workgroup_id_z 0
		.amdhsa_system_sgpr_workgroup_info 0
		.amdhsa_system_vgpr_workitem_id 0
		.amdhsa_next_free_vgpr 31
		.amdhsa_next_free_sgpr 28
		.amdhsa_named_barrier_count 0
		.amdhsa_reserve_vcc 1
		.amdhsa_float_round_mode_32 0
		.amdhsa_float_round_mode_16_64 0
		.amdhsa_float_denorm_mode_32 3
		.amdhsa_float_denorm_mode_16_64 3
		.amdhsa_fp16_overflow 0
		.amdhsa_memory_ordered 1
		.amdhsa_forward_progress 1
		.amdhsa_inst_pref_size 21
		.amdhsa_round_robin_scheduling 0
		.amdhsa_exception_fp_ieee_invalid_op 0
		.amdhsa_exception_fp_denorm_src 0
		.amdhsa_exception_fp_ieee_div_zero 0
		.amdhsa_exception_fp_ieee_overflow 0
		.amdhsa_exception_fp_ieee_underflow 0
		.amdhsa_exception_fp_ieee_inexact 0
		.amdhsa_exception_int_div_zero 0
	.end_amdhsa_kernel
	.section	.text._ZN9rocsparseL26coomvn_aos_segmented_loopsILj256EiffffEEvlT0_NS_24const_host_device_scalarIT4_EEPKS1_PKT1_PKT2_PT3_PS1_PS3_21rocsparse_index_base_b,"axG",@progbits,_ZN9rocsparseL26coomvn_aos_segmented_loopsILj256EiffffEEvlT0_NS_24const_host_device_scalarIT4_EEPKS1_PKT1_PKT2_PT3_PS1_PS3_21rocsparse_index_base_b,comdat
.Lfunc_end2:
	.size	_ZN9rocsparseL26coomvn_aos_segmented_loopsILj256EiffffEEvlT0_NS_24const_host_device_scalarIT4_EEPKS1_PKT1_PKT2_PT3_PS1_PS3_21rocsparse_index_base_b, .Lfunc_end2-_ZN9rocsparseL26coomvn_aos_segmented_loopsILj256EiffffEEvlT0_NS_24const_host_device_scalarIT4_EEPKS1_PKT1_PKT2_PT3_PS1_PS3_21rocsparse_index_base_b
                                        ; -- End function
	.set _ZN9rocsparseL26coomvn_aos_segmented_loopsILj256EiffffEEvlT0_NS_24const_host_device_scalarIT4_EEPKS1_PKT1_PKT2_PT3_PS1_PS3_21rocsparse_index_base_b.num_vgpr, 31
	.set _ZN9rocsparseL26coomvn_aos_segmented_loopsILj256EiffffEEvlT0_NS_24const_host_device_scalarIT4_EEPKS1_PKT1_PKT2_PT3_PS1_PS3_21rocsparse_index_base_b.num_agpr, 0
	.set _ZN9rocsparseL26coomvn_aos_segmented_loopsILj256EiffffEEvlT0_NS_24const_host_device_scalarIT4_EEPKS1_PKT1_PKT2_PT3_PS1_PS3_21rocsparse_index_base_b.numbered_sgpr, 28
	.set _ZN9rocsparseL26coomvn_aos_segmented_loopsILj256EiffffEEvlT0_NS_24const_host_device_scalarIT4_EEPKS1_PKT1_PKT2_PT3_PS1_PS3_21rocsparse_index_base_b.num_named_barrier, 0
	.set _ZN9rocsparseL26coomvn_aos_segmented_loopsILj256EiffffEEvlT0_NS_24const_host_device_scalarIT4_EEPKS1_PKT1_PKT2_PT3_PS1_PS3_21rocsparse_index_base_b.private_seg_size, 0
	.set _ZN9rocsparseL26coomvn_aos_segmented_loopsILj256EiffffEEvlT0_NS_24const_host_device_scalarIT4_EEPKS1_PKT1_PKT2_PT3_PS1_PS3_21rocsparse_index_base_b.uses_vcc, 1
	.set _ZN9rocsparseL26coomvn_aos_segmented_loopsILj256EiffffEEvlT0_NS_24const_host_device_scalarIT4_EEPKS1_PKT1_PKT2_PT3_PS1_PS3_21rocsparse_index_base_b.uses_flat_scratch, 0
	.set _ZN9rocsparseL26coomvn_aos_segmented_loopsILj256EiffffEEvlT0_NS_24const_host_device_scalarIT4_EEPKS1_PKT1_PKT2_PT3_PS1_PS3_21rocsparse_index_base_b.has_dyn_sized_stack, 0
	.set _ZN9rocsparseL26coomvn_aos_segmented_loopsILj256EiffffEEvlT0_NS_24const_host_device_scalarIT4_EEPKS1_PKT1_PKT2_PT3_PS1_PS3_21rocsparse_index_base_b.has_recursion, 0
	.set _ZN9rocsparseL26coomvn_aos_segmented_loopsILj256EiffffEEvlT0_NS_24const_host_device_scalarIT4_EEPKS1_PKT1_PKT2_PT3_PS1_PS3_21rocsparse_index_base_b.has_indirect_call, 0
	.section	.AMDGPU.csdata,"",@progbits
; Kernel info:
; codeLenInByte = 2664
; TotalNumSgprs: 30
; NumVgprs: 31
; ScratchSize: 0
; MemoryBound: 0
; FloatMode: 240
; IeeeMode: 1
; LDSByteSize: 2048 bytes/workgroup (compile time only)
; SGPRBlocks: 0
; VGPRBlocks: 1
; NumSGPRsForWavesPerEU: 30
; NumVGPRsForWavesPerEU: 31
; NamedBarCnt: 0
; Occupancy: 16
; WaveLimiterHint : 1
; COMPUTE_PGM_RSRC2:SCRATCH_EN: 0
; COMPUTE_PGM_RSRC2:USER_SGPR: 2
; COMPUTE_PGM_RSRC2:TRAP_HANDLER: 0
; COMPUTE_PGM_RSRC2:TGID_X_EN: 1
; COMPUTE_PGM_RSRC2:TGID_Y_EN: 0
; COMPUTE_PGM_RSRC2:TGID_Z_EN: 0
; COMPUTE_PGM_RSRC2:TIDIG_COMP_CNT: 0
	.section	.text._ZN9rocsparseL29coomvn_segmented_loops_reduceILj256EiffEEvT0_NS_24const_host_device_scalarIT2_EEPKS1_PKS3_PT1_b,"axG",@progbits,_ZN9rocsparseL29coomvn_segmented_loops_reduceILj256EiffEEvT0_NS_24const_host_device_scalarIT2_EEPKS1_PKS3_PT1_b,comdat
	.globl	_ZN9rocsparseL29coomvn_segmented_loops_reduceILj256EiffEEvT0_NS_24const_host_device_scalarIT2_EEPKS1_PKS3_PT1_b ; -- Begin function _ZN9rocsparseL29coomvn_segmented_loops_reduceILj256EiffEEvT0_NS_24const_host_device_scalarIT2_EEPKS1_PKS3_PT1_b
	.p2align	8
	.type	_ZN9rocsparseL29coomvn_segmented_loops_reduceILj256EiffEEvT0_NS_24const_host_device_scalarIT2_EEPKS1_PKS3_PT1_b,@function
_ZN9rocsparseL29coomvn_segmented_loops_reduceILj256EiffEEvT0_NS_24const_host_device_scalarIT2_EEPKS1_PKS3_PT1_b: ; @_ZN9rocsparseL29coomvn_segmented_loops_reduceILj256EiffEEvT0_NS_24const_host_device_scalarIT2_EEPKS1_PKS3_PT1_b
; %bb.0:
	s_clause 0x1
	s_load_b32 s4, s[0:1], 0x28
	s_load_b64 s[2:3], s[0:1], 0x8
	s_wait_kmcnt 0x0
	s_bitcmp1_b32 s4, 0
	s_cselect_b32 s4, -1, 0
	s_delay_alu instid0(SALU_CYCLE_1)
	s_and_b32 vcc_lo, exec_lo, s4
	s_cbranch_vccnz .LBB3_2
; %bb.1:
	s_load_b32 s2, s[2:3], 0x0
.LBB3_2:
	s_wait_kmcnt 0x0
	s_cmp_eq_f32 s2, 0
	s_cbranch_scc1 .LBB3_44
; %bb.3:
	s_load_b32 s8, s[0:1], 0x0
	s_wait_kmcnt 0x0
	s_cmp_lt_i32 s8, 1
	s_cbranch_scc1 .LBB3_44
; %bb.4:
	s_clause 0x1
	s_load_b128 s[4:7], s[0:1], 0x10
	s_load_b64 s[2:3], s[0:1], 0x20
	s_wait_xcnt 0x0
	v_sub_co_u32 v4, s0, v0, 1
	s_xor_b32 s9, s0, -1
	v_sub_co_u32 v6, s0, v0, 2
	s_xor_b32 s10, s0, -1
	;; [unrolled: 2-line block ×5, first 2 shown]
	v_sub_co_u32 v14, s0, v0, 32
	v_lshlrev_b32_e32 v1, 2, v0
	s_xor_b32 s14, s0, -1
	v_sub_co_u32 v16, s0, v0, 64
	v_subrev_co_u32 v18, s1, 0x80, v0
	s_delay_alu instid0(VALU_DEP_3)
	v_or_b32_e32 v2, 0x400, v1
	v_dual_add_nc_u32 v3, -4, v1 :: v_dual_add_nc_u32 v5, -8, v1
	v_lshl_add_u32 v4, v4, 2, 0x400
	v_lshl_add_u32 v6, v6, 2, 0x400
	v_add_nc_u32_e32 v7, -16, v1
	v_lshl_add_u32 v8, v8, 2, 0x400
	v_subrev_nc_u32_e32 v9, 32, v1
	v_lshl_add_u32 v10, v10, 2, 0x400
	v_subrev_nc_u32_e32 v11, 64, v1
	v_lshl_add_u32 v12, v12, 2, 0x400
	v_add_nc_u32_e32 v13, 0xffffff80, v1
	v_lshl_add_u32 v14, v14, 2, 0x400
	v_add_nc_u32_e32 v15, 0xffffff00, v1
	v_lshl_add_u32 v16, v16, 2, 0x400
	v_add_nc_u32_e32 v17, 0xfffffe00, v1
	v_lshl_add_u32 v18, v18, 2, 0x400
	s_xor_b32 s15, s0, -1
	s_xor_b32 s16, s1, -1
	s_mov_b32 s17, 0
	v_cmp_gt_u32_e32 vcc_lo, 0xff, v0
	s_branch .LBB3_6
.LBB3_5:                                ;   in Loop: Header=BB3_6 Depth=1
	s_wait_xcnt 0x0
	s_or_b32 exec_lo, exec_lo, s0
	s_addk_co_i32 s17, 0x100
	s_wait_storecnt 0x0
	s_cmp_lt_i32 s17, s8
	s_barrier_signal -1
	s_barrier_wait -1
	s_cbranch_scc0 .LBB3_44
.LBB3_6:                                ; =>This Inner Loop Header: Depth=1
	v_dual_add_nc_u32 v21, s17, v0 :: v_dual_mov_b32 v19, 0
	v_dual_mov_b32 v20, -1 :: v_dual_mov_b32 v22, 0
	s_mov_b32 s1, exec_lo
	s_delay_alu instid0(VALU_DEP_2)
	v_cmpx_gt_i32_e64 s8, v21
	s_cbranch_execz .LBB3_8
; %bb.7:                                ;   in Loop: Header=BB3_6 Depth=1
	s_wait_kmcnt 0x0
	s_clause 0x1
	global_load_b32 v20, v21, s[4:5] scale_offset
	global_load_b32 v22, v21, s[6:7] scale_offset
.LBB3_8:                                ;   in Loop: Header=BB3_6 Depth=1
	s_wait_xcnt 0x0
	s_or_b32 exec_lo, exec_lo, s1
	s_wait_loadcnt 0x1
	ds_store_b32 v1, v20
	s_wait_loadcnt 0x0
	ds_store_b32 v2, v22
	s_wait_dscnt 0x0
	s_barrier_signal -1
	s_barrier_wait -1
	s_and_saveexec_b32 s1, s9
	s_cbranch_execz .LBB3_12
; %bb.9:                                ;   in Loop: Header=BB3_6 Depth=1
	ds_load_2addr_b32 v[20:21], v3 offset1:1
	v_mov_b32_e32 v19, 0
	s_mov_b32 s18, exec_lo
	s_wait_dscnt 0x0
	v_cmpx_eq_u32_e64 v21, v20
; %bb.10:                               ;   in Loop: Header=BB3_6 Depth=1
	ds_load_b32 v19, v4
; %bb.11:                               ;   in Loop: Header=BB3_6 Depth=1
	s_or_b32 exec_lo, exec_lo, s18
.LBB3_12:                               ;   in Loop: Header=BB3_6 Depth=1
	s_delay_alu instid0(SALU_CYCLE_1)
	s_or_b32 exec_lo, exec_lo, s1
	s_wait_dscnt 0x0
	s_barrier_signal -1
	s_barrier_wait -1
	ds_load_b32 v20, v2
	s_wait_dscnt 0x0
	v_dual_add_f32 v21, v19, v20 :: v_dual_mov_b32 v19, 0
	v_mov_b32_e32 v20, 0
	ds_store_b32 v2, v21
	s_wait_dscnt 0x0
	s_barrier_signal -1
	s_barrier_wait -1
	s_and_saveexec_b32 s1, s10
	s_cbranch_execz .LBB3_16
; %bb.13:                               ;   in Loop: Header=BB3_6 Depth=1
	ds_load_b32 v20, v1
	ds_load_b32 v21, v5
	s_wait_dscnt 0x0
	v_cmp_eq_u32_e64 s0, v20, v21
	v_mov_b32_e32 v20, 0
	s_and_saveexec_b32 s18, s0
; %bb.14:                               ;   in Loop: Header=BB3_6 Depth=1
	ds_load_b32 v20, v6
; %bb.15:                               ;   in Loop: Header=BB3_6 Depth=1
	s_or_b32 exec_lo, exec_lo, s18
.LBB3_16:                               ;   in Loop: Header=BB3_6 Depth=1
	s_delay_alu instid0(SALU_CYCLE_1)
	s_or_b32 exec_lo, exec_lo, s1
	s_wait_dscnt 0x0
	s_barrier_signal -1
	s_barrier_wait -1
	ds_load_b32 v21, v2
	s_wait_dscnt 0x0
	v_add_f32_e32 v20, v20, v21
	ds_store_b32 v2, v20
	s_wait_dscnt 0x0
	s_barrier_signal -1
	s_barrier_wait -1
	s_and_saveexec_b32 s1, s11
	s_cbranch_execz .LBB3_20
; %bb.17:                               ;   in Loop: Header=BB3_6 Depth=1
	ds_load_b32 v19, v1
	ds_load_b32 v20, v7
	s_wait_dscnt 0x0
	v_cmp_eq_u32_e64 s0, v19, v20
	v_mov_b32_e32 v19, 0
	s_and_saveexec_b32 s18, s0
; %bb.18:                               ;   in Loop: Header=BB3_6 Depth=1
	ds_load_b32 v19, v8
; %bb.19:                               ;   in Loop: Header=BB3_6 Depth=1
	s_or_b32 exec_lo, exec_lo, s18
.LBB3_20:                               ;   in Loop: Header=BB3_6 Depth=1
	s_delay_alu instid0(SALU_CYCLE_1)
	s_or_b32 exec_lo, exec_lo, s1
	s_wait_dscnt 0x0
	s_barrier_signal -1
	s_barrier_wait -1
	ds_load_b32 v20, v2
	s_wait_dscnt 0x0
	v_dual_add_f32 v21, v19, v20 :: v_dual_mov_b32 v19, 0
	v_mov_b32_e32 v20, 0
	ds_store_b32 v2, v21
	s_wait_dscnt 0x0
	s_barrier_signal -1
	s_barrier_wait -1
	s_and_saveexec_b32 s1, s12
	s_cbranch_execz .LBB3_24
; %bb.21:                               ;   in Loop: Header=BB3_6 Depth=1
	ds_load_b32 v20, v1
	ds_load_b32 v21, v9
	s_wait_dscnt 0x0
	v_cmp_eq_u32_e64 s0, v20, v21
	v_mov_b32_e32 v20, 0
	s_and_saveexec_b32 s18, s0
; %bb.22:                               ;   in Loop: Header=BB3_6 Depth=1
	ds_load_b32 v20, v10
; %bb.23:                               ;   in Loop: Header=BB3_6 Depth=1
	s_or_b32 exec_lo, exec_lo, s18
.LBB3_24:                               ;   in Loop: Header=BB3_6 Depth=1
	s_delay_alu instid0(SALU_CYCLE_1)
	s_or_b32 exec_lo, exec_lo, s1
	s_wait_dscnt 0x0
	s_barrier_signal -1
	s_barrier_wait -1
	ds_load_b32 v21, v2
	s_wait_dscnt 0x0
	v_add_f32_e32 v20, v20, v21
	ds_store_b32 v2, v20
	s_wait_dscnt 0x0
	s_barrier_signal -1
	s_barrier_wait -1
	s_and_saveexec_b32 s1, s13
	s_cbranch_execz .LBB3_28
; %bb.25:                               ;   in Loop: Header=BB3_6 Depth=1
	ds_load_b32 v19, v1
	ds_load_b32 v20, v11
	s_wait_dscnt 0x0
	v_cmp_eq_u32_e64 s0, v19, v20
	v_mov_b32_e32 v19, 0
	s_and_saveexec_b32 s18, s0
; %bb.26:                               ;   in Loop: Header=BB3_6 Depth=1
	ds_load_b32 v19, v12
; %bb.27:                               ;   in Loop: Header=BB3_6 Depth=1
	s_or_b32 exec_lo, exec_lo, s18
.LBB3_28:                               ;   in Loop: Header=BB3_6 Depth=1
	;; [unrolled: 53-line block ×3, first 2 shown]
	s_delay_alu instid0(SALU_CYCLE_1)
	s_or_b32 exec_lo, exec_lo, s1
	s_wait_dscnt 0x0
	s_barrier_signal -1
	s_barrier_wait -1
	ds_load_b32 v20, v2
	s_wait_dscnt 0x0
	v_dual_add_f32 v20, v19, v20 :: v_dual_mov_b32 v19, 0
	ds_store_b32 v2, v20
	s_wait_dscnt 0x0
	s_barrier_signal -1
	s_barrier_wait -1
	s_and_saveexec_b32 s1, s16
	s_cbranch_execz .LBB3_40
; %bb.37:                               ;   in Loop: Header=BB3_6 Depth=1
	ds_load_b32 v19, v1
	ds_load_b32 v20, v17
	s_wait_dscnt 0x0
	v_cmp_eq_u32_e64 s0, v19, v20
	v_mov_b32_e32 v19, 0
	s_and_saveexec_b32 s18, s0
; %bb.38:                               ;   in Loop: Header=BB3_6 Depth=1
	ds_load_b32 v19, v18
; %bb.39:                               ;   in Loop: Header=BB3_6 Depth=1
	s_or_b32 exec_lo, exec_lo, s18
.LBB3_40:                               ;   in Loop: Header=BB3_6 Depth=1
	s_delay_alu instid0(SALU_CYCLE_1)
	s_or_b32 exec_lo, exec_lo, s1
	s_wait_dscnt 0x0
	s_barrier_signal -1
	s_barrier_wait -1
	ds_load_b32 v20, v2
	s_wait_dscnt 0x0
	v_dual_add_f32 v19, v19, v20 :: v_dual_mov_b32 v20, -1
	ds_store_b32 v2, v19
	s_wait_dscnt 0x0
	s_barrier_signal -1
	s_barrier_wait -1
	ds_load_b32 v19, v1
	s_and_saveexec_b32 s0, vcc_lo
; %bb.41:                               ;   in Loop: Header=BB3_6 Depth=1
	ds_load_b32 v20, v1 offset:4
; %bb.42:                               ;   in Loop: Header=BB3_6 Depth=1
	s_or_b32 exec_lo, exec_lo, s0
	s_wait_dscnt 0x0
	v_cmp_ne_u32_e64 s0, v19, v20
	v_cmp_lt_i32_e64 s1, -1, v19
	s_and_b32 s1, s1, s0
	s_delay_alu instid0(SALU_CYCLE_1)
	s_and_saveexec_b32 s0, s1
	s_cbranch_execz .LBB3_5
; %bb.43:                               ;   in Loop: Header=BB3_6 Depth=1
	s_wait_kmcnt 0x0
	global_load_b32 v20, v19, s[2:3] scale_offset
	ds_load_b32 v21, v2
	s_wait_loadcnt_dscnt 0x0
	v_add_f32_e32 v20, v20, v21
	global_store_b32 v19, v20, s[2:3] scale_offset
	s_branch .LBB3_5
.LBB3_44:
	s_endpgm
	.section	.rodata,"a",@progbits
	.p2align	6, 0x0
	.amdhsa_kernel _ZN9rocsparseL29coomvn_segmented_loops_reduceILj256EiffEEvT0_NS_24const_host_device_scalarIT2_EEPKS1_PKS3_PT1_b
		.amdhsa_group_segment_fixed_size 2048
		.amdhsa_private_segment_fixed_size 0
		.amdhsa_kernarg_size 44
		.amdhsa_user_sgpr_count 2
		.amdhsa_user_sgpr_dispatch_ptr 0
		.amdhsa_user_sgpr_queue_ptr 0
		.amdhsa_user_sgpr_kernarg_segment_ptr 1
		.amdhsa_user_sgpr_dispatch_id 0
		.amdhsa_user_sgpr_kernarg_preload_length 0
		.amdhsa_user_sgpr_kernarg_preload_offset 0
		.amdhsa_user_sgpr_private_segment_size 0
		.amdhsa_wavefront_size32 1
		.amdhsa_uses_dynamic_stack 0
		.amdhsa_enable_private_segment 0
		.amdhsa_system_sgpr_workgroup_id_x 1
		.amdhsa_system_sgpr_workgroup_id_y 0
		.amdhsa_system_sgpr_workgroup_id_z 0
		.amdhsa_system_sgpr_workgroup_info 0
		.amdhsa_system_vgpr_workitem_id 0
		.amdhsa_next_free_vgpr 23
		.amdhsa_next_free_sgpr 19
		.amdhsa_named_barrier_count 0
		.amdhsa_reserve_vcc 1
		.amdhsa_float_round_mode_32 0
		.amdhsa_float_round_mode_16_64 0
		.amdhsa_float_denorm_mode_32 3
		.amdhsa_float_denorm_mode_16_64 3
		.amdhsa_fp16_overflow 0
		.amdhsa_memory_ordered 1
		.amdhsa_forward_progress 1
		.amdhsa_inst_pref_size 13
		.amdhsa_round_robin_scheduling 0
		.amdhsa_exception_fp_ieee_invalid_op 0
		.amdhsa_exception_fp_denorm_src 0
		.amdhsa_exception_fp_ieee_div_zero 0
		.amdhsa_exception_fp_ieee_overflow 0
		.amdhsa_exception_fp_ieee_underflow 0
		.amdhsa_exception_fp_ieee_inexact 0
		.amdhsa_exception_int_div_zero 0
	.end_amdhsa_kernel
	.section	.text._ZN9rocsparseL29coomvn_segmented_loops_reduceILj256EiffEEvT0_NS_24const_host_device_scalarIT2_EEPKS1_PKS3_PT1_b,"axG",@progbits,_ZN9rocsparseL29coomvn_segmented_loops_reduceILj256EiffEEvT0_NS_24const_host_device_scalarIT2_EEPKS1_PKS3_PT1_b,comdat
.Lfunc_end3:
	.size	_ZN9rocsparseL29coomvn_segmented_loops_reduceILj256EiffEEvT0_NS_24const_host_device_scalarIT2_EEPKS1_PKS3_PT1_b, .Lfunc_end3-_ZN9rocsparseL29coomvn_segmented_loops_reduceILj256EiffEEvT0_NS_24const_host_device_scalarIT2_EEPKS1_PKS3_PT1_b
                                        ; -- End function
	.set _ZN9rocsparseL29coomvn_segmented_loops_reduceILj256EiffEEvT0_NS_24const_host_device_scalarIT2_EEPKS1_PKS3_PT1_b.num_vgpr, 23
	.set _ZN9rocsparseL29coomvn_segmented_loops_reduceILj256EiffEEvT0_NS_24const_host_device_scalarIT2_EEPKS1_PKS3_PT1_b.num_agpr, 0
	.set _ZN9rocsparseL29coomvn_segmented_loops_reduceILj256EiffEEvT0_NS_24const_host_device_scalarIT2_EEPKS1_PKS3_PT1_b.numbered_sgpr, 19
	.set _ZN9rocsparseL29coomvn_segmented_loops_reduceILj256EiffEEvT0_NS_24const_host_device_scalarIT2_EEPKS1_PKS3_PT1_b.num_named_barrier, 0
	.set _ZN9rocsparseL29coomvn_segmented_loops_reduceILj256EiffEEvT0_NS_24const_host_device_scalarIT2_EEPKS1_PKS3_PT1_b.private_seg_size, 0
	.set _ZN9rocsparseL29coomvn_segmented_loops_reduceILj256EiffEEvT0_NS_24const_host_device_scalarIT2_EEPKS1_PKS3_PT1_b.uses_vcc, 1
	.set _ZN9rocsparseL29coomvn_segmented_loops_reduceILj256EiffEEvT0_NS_24const_host_device_scalarIT2_EEPKS1_PKS3_PT1_b.uses_flat_scratch, 0
	.set _ZN9rocsparseL29coomvn_segmented_loops_reduceILj256EiffEEvT0_NS_24const_host_device_scalarIT2_EEPKS1_PKS3_PT1_b.has_dyn_sized_stack, 0
	.set _ZN9rocsparseL29coomvn_segmented_loops_reduceILj256EiffEEvT0_NS_24const_host_device_scalarIT2_EEPKS1_PKS3_PT1_b.has_recursion, 0
	.set _ZN9rocsparseL29coomvn_segmented_loops_reduceILj256EiffEEvT0_NS_24const_host_device_scalarIT2_EEPKS1_PKS3_PT1_b.has_indirect_call, 0
	.section	.AMDGPU.csdata,"",@progbits
; Kernel info:
; codeLenInByte = 1580
; TotalNumSgprs: 21
; NumVgprs: 23
; ScratchSize: 0
; MemoryBound: 0
; FloatMode: 240
; IeeeMode: 1
; LDSByteSize: 2048 bytes/workgroup (compile time only)
; SGPRBlocks: 0
; VGPRBlocks: 1
; NumSGPRsForWavesPerEU: 21
; NumVGPRsForWavesPerEU: 23
; NamedBarCnt: 0
; Occupancy: 16
; WaveLimiterHint : 0
; COMPUTE_PGM_RSRC2:SCRATCH_EN: 0
; COMPUTE_PGM_RSRC2:USER_SGPR: 2
; COMPUTE_PGM_RSRC2:TRAP_HANDLER: 0
; COMPUTE_PGM_RSRC2:TGID_X_EN: 1
; COMPUTE_PGM_RSRC2:TGID_Y_EN: 0
; COMPUTE_PGM_RSRC2:TGID_Z_EN: 0
; COMPUTE_PGM_RSRC2:TIDIG_COMP_CNT: 0
	.section	.text._ZN9rocsparseL23coomvn_aos_atomic_loopsILj256ELj1ElffffEEvlNS_24const_host_device_scalarIT5_EEPKT1_PKT2_PKT3_PT4_21rocsparse_index_base_b,"axG",@progbits,_ZN9rocsparseL23coomvn_aos_atomic_loopsILj256ELj1ElffffEEvlNS_24const_host_device_scalarIT5_EEPKT1_PKT2_PKT3_PT4_21rocsparse_index_base_b,comdat
	.globl	_ZN9rocsparseL23coomvn_aos_atomic_loopsILj256ELj1ElffffEEvlNS_24const_host_device_scalarIT5_EEPKT1_PKT2_PKT3_PT4_21rocsparse_index_base_b ; -- Begin function _ZN9rocsparseL23coomvn_aos_atomic_loopsILj256ELj1ElffffEEvlNS_24const_host_device_scalarIT5_EEPKT1_PKT2_PKT3_PT4_21rocsparse_index_base_b
	.p2align	8
	.type	_ZN9rocsparseL23coomvn_aos_atomic_loopsILj256ELj1ElffffEEvlNS_24const_host_device_scalarIT5_EEPKT1_PKT2_PKT3_PT4_21rocsparse_index_base_b,@function
_ZN9rocsparseL23coomvn_aos_atomic_loopsILj256ELj1ElffffEEvlNS_24const_host_device_scalarIT5_EEPKT1_PKT2_PKT3_PT4_21rocsparse_index_base_b: ; @_ZN9rocsparseL23coomvn_aos_atomic_loopsILj256ELj1ElffffEEvlNS_24const_host_device_scalarIT5_EEPKT1_PKT2_PKT3_PT4_21rocsparse_index_base_b
; %bb.0:
	s_clause 0x1
	s_load_b64 s[2:3], s[0:1], 0x30
	s_load_b128 s[4:7], s[0:1], 0x0
	s_wait_kmcnt 0x0
	s_bitcmp1_b32 s3, 0
	s_cselect_b32 s3, -1, 0
	s_delay_alu instid0(SALU_CYCLE_1)
	s_and_b32 vcc_lo, exec_lo, s3
	s_cbranch_vccnz .LBB4_2
; %bb.1:
	s_load_b32 s6, s[6:7], 0x0
.LBB4_2:
	s_wait_kmcnt 0x0
	s_cmp_eq_f32 s6, 0
	s_cbranch_scc1 .LBB4_42
; %bb.3:
	s_bfe_u32 s3, ttmp6, 0x4000c
	s_and_b32 s7, ttmp6, 15
	s_add_co_i32 s3, s3, 1
	s_getreg_b32 s8, hwreg(HW_REG_IB_STS2, 6, 4)
	s_mul_i32 s3, ttmp9, s3
	v_mov_b32_e32 v3, 0
	s_add_co_i32 s7, s7, s3
	s_cmp_eq_u32 s8, 0
	v_mov_b64_e32 v[4:5], -1
	s_cselect_b32 s3, ttmp9, s7
	s_delay_alu instid0(SALU_CYCLE_1) | instskip(NEXT) | instid1(VALU_DEP_1)
	v_lshl_or_b32 v2, s3, 8, v0
	v_cmp_gt_i64_e32 vcc_lo, s[4:5], v[2:3]
	s_and_saveexec_b32 s4, vcc_lo
	s_cbranch_execz .LBB4_5
; %bb.4:
	s_clause 0x1
	s_load_b128 s[8:11], s[0:1], 0x10
	s_load_b64 s[12:13], s[0:1], 0x20
	s_mov_b32 s3, 0
	s_wait_kmcnt 0x0
	v_lshl_add_u64 v[4:5], v[2:3], 4, s[8:9]
	v_lshl_add_u64 v[2:3], v[2:3], 2, s[10:11]
	global_load_b128 v[4:7], v[4:5], off th:TH_LOAD_NT
	s_wait_loadcnt 0x0
	v_sub_nc_u64_e64 v[6:7], v[6:7], s[2:3]
	v_sub_nc_u64_e64 v[4:5], v[4:5], s[2:3]
	s_delay_alu instid0(VALU_DEP_2)
	v_lshl_add_u64 v[6:7], v[6:7], 2, s[12:13]
	global_load_b32 v1, v[2:3], off th:TH_LOAD_NT
	global_load_b32 v8, v[6:7], off
	s_wait_loadcnt 0x0
	v_mul_f32_e32 v3, v1, v8
.LBB4_5:
	s_or_b32 exec_lo, exec_lo, s4
	v_dual_lshlrev_b32 v6, 2, v0 :: v_dual_lshlrev_b32 v1, 3, v0
	s_mov_b32 s2, exec_lo
	ds_store_b64 v1, v[4:5]
	ds_store_b32 v6, v3 offset:2048
	v_or_b32_e32 v2, 0x800, v6
	s_wait_dscnt 0x0
	s_barrier_signal -1
	s_barrier_wait -1
	v_cmpx_ne_u32_e32 0, v0
	s_cbranch_execz .LBB4_9
; %bb.6:
	v_add_nc_u32_e32 v6, -8, v1
	s_mov_b32 s3, exec_lo
	ds_load_b64 v[6:7], v6
	s_wait_dscnt 0x0
	v_cmpx_eq_u64_e64 v[4:5], v[6:7]
	s_cbranch_execz .LBB4_8
; %bb.7:
	v_add_nc_u32_e32 v6, -4, v2
	ds_load_b32 v6, v6
	s_wait_dscnt 0x0
	v_add_f32_e32 v3, v3, v6
.LBB4_8:
	s_or_b32 exec_lo, exec_lo, s3
.LBB4_9:
	s_delay_alu instid0(SALU_CYCLE_1) | instskip(NEXT) | instid1(SALU_CYCLE_1)
	s_or_b32 exec_lo, exec_lo, s2
	s_mov_b32 s2, exec_lo
	s_barrier_signal -1
	s_barrier_wait -1
	ds_store_b32 v2, v3
	s_wait_dscnt 0x0
	s_barrier_signal -1
	s_barrier_wait -1
	v_cmpx_lt_u32_e32 1, v0
	s_cbranch_execz .LBB4_13
; %bb.10:
	v_add_nc_u32_e32 v6, -16, v1
	s_mov_b32 s3, exec_lo
	ds_load_b64 v[6:7], v6
	s_wait_dscnt 0x0
	v_cmpx_eq_u64_e64 v[4:5], v[6:7]
	s_cbranch_execz .LBB4_12
; %bb.11:
	v_add_nc_u32_e32 v6, -8, v2
	ds_load_b32 v6, v6
	s_wait_dscnt 0x0
	v_add_f32_e32 v3, v3, v6
.LBB4_12:
	s_or_b32 exec_lo, exec_lo, s3
.LBB4_13:
	s_delay_alu instid0(SALU_CYCLE_1) | instskip(NEXT) | instid1(SALU_CYCLE_1)
	s_or_b32 exec_lo, exec_lo, s2
	s_mov_b32 s2, exec_lo
	s_barrier_signal -1
	s_barrier_wait -1
	ds_store_b32 v2, v3
	s_wait_dscnt 0x0
	s_barrier_signal -1
	s_barrier_wait -1
	v_cmpx_lt_u32_e32 3, v0
	s_cbranch_execz .LBB4_17
; %bb.14:
	v_subrev_nc_u32_e32 v6, 32, v1
	s_mov_b32 s3, exec_lo
	ds_load_b64 v[6:7], v6
	s_wait_dscnt 0x0
	v_cmpx_eq_u64_e64 v[4:5], v[6:7]
	s_cbranch_execz .LBB4_16
; %bb.15:
	v_add_nc_u32_e32 v6, -16, v2
	ds_load_b32 v6, v6
	s_wait_dscnt 0x0
	v_add_f32_e32 v3, v3, v6
.LBB4_16:
	s_or_b32 exec_lo, exec_lo, s3
.LBB4_17:
	s_delay_alu instid0(SALU_CYCLE_1) | instskip(NEXT) | instid1(SALU_CYCLE_1)
	s_or_b32 exec_lo, exec_lo, s2
	s_mov_b32 s2, exec_lo
	s_barrier_signal -1
	s_barrier_wait -1
	ds_store_b32 v2, v3
	s_wait_dscnt 0x0
	s_barrier_signal -1
	s_barrier_wait -1
	v_cmpx_lt_u32_e32 7, v0
	s_cbranch_execz .LBB4_21
; %bb.18:
	v_subrev_nc_u32_e32 v6, 64, v1
	s_mov_b32 s3, exec_lo
	ds_load_b64 v[6:7], v6
	s_wait_dscnt 0x0
	v_cmpx_eq_u64_e64 v[4:5], v[6:7]
	s_cbranch_execz .LBB4_20
; %bb.19:
	v_subrev_nc_u32_e32 v6, 32, v2
	ds_load_b32 v6, v6
	s_wait_dscnt 0x0
	v_add_f32_e32 v3, v3, v6
.LBB4_20:
	s_or_b32 exec_lo, exec_lo, s3
.LBB4_21:
	s_delay_alu instid0(SALU_CYCLE_1) | instskip(NEXT) | instid1(SALU_CYCLE_1)
	s_or_b32 exec_lo, exec_lo, s2
	s_mov_b32 s2, exec_lo
	s_barrier_signal -1
	s_barrier_wait -1
	ds_store_b32 v2, v3
	s_wait_dscnt 0x0
	s_barrier_signal -1
	s_barrier_wait -1
	v_cmpx_lt_u32_e32 15, v0
	s_cbranch_execz .LBB4_25
; %bb.22:
	v_add_nc_u32_e32 v6, 0xffffff80, v1
	s_mov_b32 s3, exec_lo
	ds_load_b64 v[6:7], v6
	s_wait_dscnt 0x0
	v_cmpx_eq_u64_e64 v[4:5], v[6:7]
	s_cbranch_execz .LBB4_24
; %bb.23:
	v_subrev_nc_u32_e32 v6, 64, v2
	ds_load_b32 v6, v6
	s_wait_dscnt 0x0
	v_add_f32_e32 v3, v3, v6
.LBB4_24:
	s_or_b32 exec_lo, exec_lo, s3
.LBB4_25:
	s_delay_alu instid0(SALU_CYCLE_1) | instskip(NEXT) | instid1(SALU_CYCLE_1)
	s_or_b32 exec_lo, exec_lo, s2
	s_mov_b32 s2, exec_lo
	s_barrier_signal -1
	s_barrier_wait -1
	ds_store_b32 v2, v3
	s_wait_dscnt 0x0
	s_barrier_signal -1
	s_barrier_wait -1
	v_cmpx_lt_u32_e32 31, v0
	s_cbranch_execz .LBB4_29
; %bb.26:
	v_add_nc_u32_e32 v6, 0xffffff00, v1
	s_mov_b32 s3, exec_lo
	ds_load_b64 v[6:7], v6
	s_wait_dscnt 0x0
	v_cmpx_eq_u64_e64 v[4:5], v[6:7]
	s_cbranch_execz .LBB4_28
; %bb.27:
	v_add_nc_u32_e32 v6, 0xffffff80, v2
	ds_load_b32 v6, v6
	s_wait_dscnt 0x0
	v_add_f32_e32 v3, v3, v6
.LBB4_28:
	s_or_b32 exec_lo, exec_lo, s3
.LBB4_29:
	s_delay_alu instid0(SALU_CYCLE_1) | instskip(NEXT) | instid1(SALU_CYCLE_1)
	s_or_b32 exec_lo, exec_lo, s2
	s_mov_b32 s2, exec_lo
	s_barrier_signal -1
	s_barrier_wait -1
	ds_store_b32 v2, v3
	s_wait_dscnt 0x0
	s_barrier_signal -1
	s_barrier_wait -1
	v_cmpx_lt_u32_e32 63, v0
	s_cbranch_execz .LBB4_33
; %bb.30:
	v_add_nc_u32_e32 v6, 0xfffffe00, v1
	s_mov_b32 s3, exec_lo
	ds_load_b64 v[6:7], v6
	s_wait_dscnt 0x0
	v_cmpx_eq_u64_e64 v[4:5], v[6:7]
	s_cbranch_execz .LBB4_32
; %bb.31:
	v_add_nc_u32_e32 v6, 0xffffff00, v2
	ds_load_b32 v6, v6
	s_wait_dscnt 0x0
	v_add_f32_e32 v3, v3, v6
.LBB4_32:
	s_or_b32 exec_lo, exec_lo, s3
.LBB4_33:
	;; [unrolled: 26-line block ×3, first 2 shown]
	s_delay_alu instid0(SALU_CYCLE_1)
	s_or_b32 exec_lo, exec_lo, s2
	s_load_b64 s[2:3], s[0:1], 0x28
	s_wait_xcnt 0x0
	s_mov_b32 s1, exec_lo
	s_barrier_signal -1
	s_barrier_wait -1
	ds_store_b32 v2, v3
	s_wait_dscnt 0x0
	s_barrier_signal -1
	s_barrier_wait -1
	v_cmpx_gt_u32_e32 0xff, v0
	s_cbranch_execz .LBB4_40
; %bb.38:
	ds_load_b64 v[6:7], v1 offset:8
	v_cmp_lt_i64_e64 s0, -1, v[4:5]
	s_wait_dscnt 0x0
	v_cmp_ne_u64_e32 vcc_lo, v[4:5], v[6:7]
	s_and_b32 s0, s0, vcc_lo
	s_delay_alu instid0(SALU_CYCLE_1)
	s_and_b32 exec_lo, exec_lo, s0
	s_cbranch_execz .LBB4_40
; %bb.39:
	s_wait_kmcnt 0x0
	v_lshl_add_u64 v[6:7], v[4:5], 2, s[2:3]
	v_mul_f32_e32 v1, s6, v3
	global_atomic_add_f32 v[6:7], v1, off scope:SCOPE_DEV
.LBB4_40:
	s_wait_xcnt 0x0
	s_or_b32 exec_lo, exec_lo, s1
	v_cmp_lt_i64_e32 vcc_lo, -1, v[4:5]
	v_cmp_eq_u32_e64 s0, 0xff, v0
	s_and_b32 s0, s0, vcc_lo
	s_delay_alu instid0(SALU_CYCLE_1)
	s_and_saveexec_b32 s1, s0
	s_cbranch_execz .LBB4_42
; %bb.41:
	s_wait_kmcnt 0x0
	v_lshl_add_u64 v[0:1], v[4:5], 2, s[2:3]
	v_mul_f32_e32 v2, s6, v3
	global_atomic_add_f32 v[0:1], v2, off scope:SCOPE_DEV
.LBB4_42:
	s_endpgm
	.section	.rodata,"a",@progbits
	.p2align	6, 0x0
	.amdhsa_kernel _ZN9rocsparseL23coomvn_aos_atomic_loopsILj256ELj1ElffffEEvlNS_24const_host_device_scalarIT5_EEPKT1_PKT2_PKT3_PT4_21rocsparse_index_base_b
		.amdhsa_group_segment_fixed_size 3072
		.amdhsa_private_segment_fixed_size 0
		.amdhsa_kernarg_size 56
		.amdhsa_user_sgpr_count 2
		.amdhsa_user_sgpr_dispatch_ptr 0
		.amdhsa_user_sgpr_queue_ptr 0
		.amdhsa_user_sgpr_kernarg_segment_ptr 1
		.amdhsa_user_sgpr_dispatch_id 0
		.amdhsa_user_sgpr_kernarg_preload_length 0
		.amdhsa_user_sgpr_kernarg_preload_offset 0
		.amdhsa_user_sgpr_private_segment_size 0
		.amdhsa_wavefront_size32 1
		.amdhsa_uses_dynamic_stack 0
		.amdhsa_enable_private_segment 0
		.amdhsa_system_sgpr_workgroup_id_x 1
		.amdhsa_system_sgpr_workgroup_id_y 0
		.amdhsa_system_sgpr_workgroup_id_z 0
		.amdhsa_system_sgpr_workgroup_info 0
		.amdhsa_system_vgpr_workitem_id 0
		.amdhsa_next_free_vgpr 9
		.amdhsa_next_free_sgpr 14
		.amdhsa_named_barrier_count 0
		.amdhsa_reserve_vcc 1
		.amdhsa_float_round_mode_32 0
		.amdhsa_float_round_mode_16_64 0
		.amdhsa_float_denorm_mode_32 3
		.amdhsa_float_denorm_mode_16_64 3
		.amdhsa_fp16_overflow 0
		.amdhsa_memory_ordered 1
		.amdhsa_forward_progress 1
		.amdhsa_inst_pref_size 11
		.amdhsa_round_robin_scheduling 0
		.amdhsa_exception_fp_ieee_invalid_op 0
		.amdhsa_exception_fp_denorm_src 0
		.amdhsa_exception_fp_ieee_div_zero 0
		.amdhsa_exception_fp_ieee_overflow 0
		.amdhsa_exception_fp_ieee_underflow 0
		.amdhsa_exception_fp_ieee_inexact 0
		.amdhsa_exception_int_div_zero 0
	.end_amdhsa_kernel
	.section	.text._ZN9rocsparseL23coomvn_aos_atomic_loopsILj256ELj1ElffffEEvlNS_24const_host_device_scalarIT5_EEPKT1_PKT2_PKT3_PT4_21rocsparse_index_base_b,"axG",@progbits,_ZN9rocsparseL23coomvn_aos_atomic_loopsILj256ELj1ElffffEEvlNS_24const_host_device_scalarIT5_EEPKT1_PKT2_PKT3_PT4_21rocsparse_index_base_b,comdat
.Lfunc_end4:
	.size	_ZN9rocsparseL23coomvn_aos_atomic_loopsILj256ELj1ElffffEEvlNS_24const_host_device_scalarIT5_EEPKT1_PKT2_PKT3_PT4_21rocsparse_index_base_b, .Lfunc_end4-_ZN9rocsparseL23coomvn_aos_atomic_loopsILj256ELj1ElffffEEvlNS_24const_host_device_scalarIT5_EEPKT1_PKT2_PKT3_PT4_21rocsparse_index_base_b
                                        ; -- End function
	.set _ZN9rocsparseL23coomvn_aos_atomic_loopsILj256ELj1ElffffEEvlNS_24const_host_device_scalarIT5_EEPKT1_PKT2_PKT3_PT4_21rocsparse_index_base_b.num_vgpr, 9
	.set _ZN9rocsparseL23coomvn_aos_atomic_loopsILj256ELj1ElffffEEvlNS_24const_host_device_scalarIT5_EEPKT1_PKT2_PKT3_PT4_21rocsparse_index_base_b.num_agpr, 0
	.set _ZN9rocsparseL23coomvn_aos_atomic_loopsILj256ELj1ElffffEEvlNS_24const_host_device_scalarIT5_EEPKT1_PKT2_PKT3_PT4_21rocsparse_index_base_b.numbered_sgpr, 14
	.set _ZN9rocsparseL23coomvn_aos_atomic_loopsILj256ELj1ElffffEEvlNS_24const_host_device_scalarIT5_EEPKT1_PKT2_PKT3_PT4_21rocsparse_index_base_b.num_named_barrier, 0
	.set _ZN9rocsparseL23coomvn_aos_atomic_loopsILj256ELj1ElffffEEvlNS_24const_host_device_scalarIT5_EEPKT1_PKT2_PKT3_PT4_21rocsparse_index_base_b.private_seg_size, 0
	.set _ZN9rocsparseL23coomvn_aos_atomic_loopsILj256ELj1ElffffEEvlNS_24const_host_device_scalarIT5_EEPKT1_PKT2_PKT3_PT4_21rocsparse_index_base_b.uses_vcc, 1
	.set _ZN9rocsparseL23coomvn_aos_atomic_loopsILj256ELj1ElffffEEvlNS_24const_host_device_scalarIT5_EEPKT1_PKT2_PKT3_PT4_21rocsparse_index_base_b.uses_flat_scratch, 0
	.set _ZN9rocsparseL23coomvn_aos_atomic_loopsILj256ELj1ElffffEEvlNS_24const_host_device_scalarIT5_EEPKT1_PKT2_PKT3_PT4_21rocsparse_index_base_b.has_dyn_sized_stack, 0
	.set _ZN9rocsparseL23coomvn_aos_atomic_loopsILj256ELj1ElffffEEvlNS_24const_host_device_scalarIT5_EEPKT1_PKT2_PKT3_PT4_21rocsparse_index_base_b.has_recursion, 0
	.set _ZN9rocsparseL23coomvn_aos_atomic_loopsILj256ELj1ElffffEEvlNS_24const_host_device_scalarIT5_EEPKT1_PKT2_PKT3_PT4_21rocsparse_index_base_b.has_indirect_call, 0
	.section	.AMDGPU.csdata,"",@progbits
; Kernel info:
; codeLenInByte = 1336
; TotalNumSgprs: 16
; NumVgprs: 9
; ScratchSize: 0
; MemoryBound: 0
; FloatMode: 240
; IeeeMode: 1
; LDSByteSize: 3072 bytes/workgroup (compile time only)
; SGPRBlocks: 0
; VGPRBlocks: 0
; NumSGPRsForWavesPerEU: 16
; NumVGPRsForWavesPerEU: 9
; NamedBarCnt: 0
; Occupancy: 16
; WaveLimiterHint : 1
; COMPUTE_PGM_RSRC2:SCRATCH_EN: 0
; COMPUTE_PGM_RSRC2:USER_SGPR: 2
; COMPUTE_PGM_RSRC2:TRAP_HANDLER: 0
; COMPUTE_PGM_RSRC2:TGID_X_EN: 1
; COMPUTE_PGM_RSRC2:TGID_Y_EN: 0
; COMPUTE_PGM_RSRC2:TGID_Z_EN: 0
; COMPUTE_PGM_RSRC2:TIDIG_COMP_CNT: 0
	.section	.text._ZN9rocsparseL17coomvt_aos_kernelILj1024ElffffEEv20rocsparse_operation_lNS_24const_host_device_scalarIT4_EEPKT0_PKT1_PKT2_PT3_21rocsparse_index_base_b,"axG",@progbits,_ZN9rocsparseL17coomvt_aos_kernelILj1024ElffffEEv20rocsparse_operation_lNS_24const_host_device_scalarIT4_EEPKT0_PKT1_PKT2_PT3_21rocsparse_index_base_b,comdat
	.globl	_ZN9rocsparseL17coomvt_aos_kernelILj1024ElffffEEv20rocsparse_operation_lNS_24const_host_device_scalarIT4_EEPKT0_PKT1_PKT2_PT3_21rocsparse_index_base_b ; -- Begin function _ZN9rocsparseL17coomvt_aos_kernelILj1024ElffffEEv20rocsparse_operation_lNS_24const_host_device_scalarIT4_EEPKT0_PKT1_PKT2_PT3_21rocsparse_index_base_b
	.p2align	8
	.type	_ZN9rocsparseL17coomvt_aos_kernelILj1024ElffffEEv20rocsparse_operation_lNS_24const_host_device_scalarIT4_EEPKT0_PKT1_PKT2_PT3_21rocsparse_index_base_b,@function
_ZN9rocsparseL17coomvt_aos_kernelILj1024ElffffEEv20rocsparse_operation_lNS_24const_host_device_scalarIT4_EEPKT0_PKT1_PKT2_PT3_21rocsparse_index_base_b: ; @_ZN9rocsparseL17coomvt_aos_kernelILj1024ElffffEEv20rocsparse_operation_lNS_24const_host_device_scalarIT4_EEPKT0_PKT1_PKT2_PT3_21rocsparse_index_base_b
; %bb.0:
	s_clause 0x1
	s_load_b64 s[2:3], s[0:1], 0x38
	s_load_b128 s[4:7], s[0:1], 0x8
	s_wait_kmcnt 0x0
	s_bitcmp1_b32 s3, 0
	s_cselect_b32 s3, -1, 0
	s_delay_alu instid0(SALU_CYCLE_1)
	s_and_b32 vcc_lo, exec_lo, s3
	s_cbranch_vccnz .LBB5_2
; %bb.1:
	s_load_b32 s6, s[6:7], 0x0
.LBB5_2:
	s_wait_kmcnt 0x0
	s_cmp_eq_f32 s6, 0
	s_cbranch_scc1 .LBB5_5
; %bb.3:
	s_load_b32 s3, s[0:1], 0x4c
	s_bfe_u32 s7, ttmp6, 0x4000c
	s_and_b32 s8, ttmp6, 15
	s_add_co_i32 s7, s7, 1
	s_getreg_b32 s9, hwreg(HW_REG_IB_STS2, 6, 4)
	s_mul_i32 s7, ttmp9, s7
	v_mov_b32_e32 v1, 0
	s_add_co_i32 s8, s8, s7
	s_wait_kmcnt 0x0
	s_and_b32 s3, s3, 0xffff
	s_cmp_eq_u32 s9, 0
	s_cselect_b32 s7, ttmp9, s8
	s_delay_alu instid0(SALU_CYCLE_1) | instskip(SKIP_1) | instid1(VALU_DEP_1)
	v_mad_u32 v0, s7, s3, v0
	s_mov_b32 s3, exec_lo
	v_cmpx_gt_i64_e64 s[4:5], v[0:1]
	s_cbranch_execz .LBB5_5
; %bb.4:
	s_load_b256 s[8:15], s[0:1], 0x18
	s_mov_b32 s3, 0
	s_wait_kmcnt 0x0
	v_lshl_add_u64 v[2:3], v[0:1], 4, s[8:9]
	v_lshl_add_u64 v[0:1], v[0:1], 2, s[10:11]
	global_load_b128 v[2:5], v[2:3], off
	global_load_b32 v6, v[0:1], off
	s_wait_loadcnt 0x1
	s_wait_xcnt 0x1
	v_sub_nc_u64_e64 v[2:3], v[2:3], s[2:3]
	s_wait_xcnt 0x0
	s_delay_alu instid0(VALU_DEP_1)
	v_lshl_add_u64 v[0:1], v[2:3], 2, s[12:13]
	s_wait_loadcnt 0x0
	v_mul_f32_e32 v3, s6, v6
	global_load_b32 v2, v[0:1], off
	s_wait_xcnt 0x0
	v_sub_nc_u64_e64 v[0:1], v[4:5], s[2:3]
	s_delay_alu instid0(VALU_DEP_1)
	v_lshl_add_u64 v[0:1], v[0:1], 2, s[14:15]
	s_wait_loadcnt 0x0
	v_mul_f32_e32 v2, v3, v2
	global_atomic_add_f32 v[0:1], v2, off scope:SCOPE_DEV
.LBB5_5:
	s_endpgm
	.section	.rodata,"a",@progbits
	.p2align	6, 0x0
	.amdhsa_kernel _ZN9rocsparseL17coomvt_aos_kernelILj1024ElffffEEv20rocsparse_operation_lNS_24const_host_device_scalarIT4_EEPKT0_PKT1_PKT2_PT3_21rocsparse_index_base_b
		.amdhsa_group_segment_fixed_size 0
		.amdhsa_private_segment_fixed_size 0
		.amdhsa_kernarg_size 320
		.amdhsa_user_sgpr_count 2
		.amdhsa_user_sgpr_dispatch_ptr 0
		.amdhsa_user_sgpr_queue_ptr 0
		.amdhsa_user_sgpr_kernarg_segment_ptr 1
		.amdhsa_user_sgpr_dispatch_id 0
		.amdhsa_user_sgpr_kernarg_preload_length 0
		.amdhsa_user_sgpr_kernarg_preload_offset 0
		.amdhsa_user_sgpr_private_segment_size 0
		.amdhsa_wavefront_size32 1
		.amdhsa_uses_dynamic_stack 0
		.amdhsa_enable_private_segment 0
		.amdhsa_system_sgpr_workgroup_id_x 1
		.amdhsa_system_sgpr_workgroup_id_y 0
		.amdhsa_system_sgpr_workgroup_id_z 0
		.amdhsa_system_sgpr_workgroup_info 0
		.amdhsa_system_vgpr_workitem_id 0
		.amdhsa_next_free_vgpr 7
		.amdhsa_next_free_sgpr 16
		.amdhsa_named_barrier_count 0
		.amdhsa_reserve_vcc 1
		.amdhsa_float_round_mode_32 0
		.amdhsa_float_round_mode_16_64 0
		.amdhsa_float_denorm_mode_32 3
		.amdhsa_float_denorm_mode_16_64 3
		.amdhsa_fp16_overflow 0
		.amdhsa_memory_ordered 1
		.amdhsa_forward_progress 1
		.amdhsa_inst_pref_size 3
		.amdhsa_round_robin_scheduling 0
		.amdhsa_exception_fp_ieee_invalid_op 0
		.amdhsa_exception_fp_denorm_src 0
		.amdhsa_exception_fp_ieee_div_zero 0
		.amdhsa_exception_fp_ieee_overflow 0
		.amdhsa_exception_fp_ieee_underflow 0
		.amdhsa_exception_fp_ieee_inexact 0
		.amdhsa_exception_int_div_zero 0
	.end_amdhsa_kernel
	.section	.text._ZN9rocsparseL17coomvt_aos_kernelILj1024ElffffEEv20rocsparse_operation_lNS_24const_host_device_scalarIT4_EEPKT0_PKT1_PKT2_PT3_21rocsparse_index_base_b,"axG",@progbits,_ZN9rocsparseL17coomvt_aos_kernelILj1024ElffffEEv20rocsparse_operation_lNS_24const_host_device_scalarIT4_EEPKT0_PKT1_PKT2_PT3_21rocsparse_index_base_b,comdat
.Lfunc_end5:
	.size	_ZN9rocsparseL17coomvt_aos_kernelILj1024ElffffEEv20rocsparse_operation_lNS_24const_host_device_scalarIT4_EEPKT0_PKT1_PKT2_PT3_21rocsparse_index_base_b, .Lfunc_end5-_ZN9rocsparseL17coomvt_aos_kernelILj1024ElffffEEv20rocsparse_operation_lNS_24const_host_device_scalarIT4_EEPKT0_PKT1_PKT2_PT3_21rocsparse_index_base_b
                                        ; -- End function
	.set _ZN9rocsparseL17coomvt_aos_kernelILj1024ElffffEEv20rocsparse_operation_lNS_24const_host_device_scalarIT4_EEPKT0_PKT1_PKT2_PT3_21rocsparse_index_base_b.num_vgpr, 7
	.set _ZN9rocsparseL17coomvt_aos_kernelILj1024ElffffEEv20rocsparse_operation_lNS_24const_host_device_scalarIT4_EEPKT0_PKT1_PKT2_PT3_21rocsparse_index_base_b.num_agpr, 0
	.set _ZN9rocsparseL17coomvt_aos_kernelILj1024ElffffEEv20rocsparse_operation_lNS_24const_host_device_scalarIT4_EEPKT0_PKT1_PKT2_PT3_21rocsparse_index_base_b.numbered_sgpr, 16
	.set _ZN9rocsparseL17coomvt_aos_kernelILj1024ElffffEEv20rocsparse_operation_lNS_24const_host_device_scalarIT4_EEPKT0_PKT1_PKT2_PT3_21rocsparse_index_base_b.num_named_barrier, 0
	.set _ZN9rocsparseL17coomvt_aos_kernelILj1024ElffffEEv20rocsparse_operation_lNS_24const_host_device_scalarIT4_EEPKT0_PKT1_PKT2_PT3_21rocsparse_index_base_b.private_seg_size, 0
	.set _ZN9rocsparseL17coomvt_aos_kernelILj1024ElffffEEv20rocsparse_operation_lNS_24const_host_device_scalarIT4_EEPKT0_PKT1_PKT2_PT3_21rocsparse_index_base_b.uses_vcc, 1
	.set _ZN9rocsparseL17coomvt_aos_kernelILj1024ElffffEEv20rocsparse_operation_lNS_24const_host_device_scalarIT4_EEPKT0_PKT1_PKT2_PT3_21rocsparse_index_base_b.uses_flat_scratch, 0
	.set _ZN9rocsparseL17coomvt_aos_kernelILj1024ElffffEEv20rocsparse_operation_lNS_24const_host_device_scalarIT4_EEPKT0_PKT1_PKT2_PT3_21rocsparse_index_base_b.has_dyn_sized_stack, 0
	.set _ZN9rocsparseL17coomvt_aos_kernelILj1024ElffffEEv20rocsparse_operation_lNS_24const_host_device_scalarIT4_EEPKT0_PKT1_PKT2_PT3_21rocsparse_index_base_b.has_recursion, 0
	.set _ZN9rocsparseL17coomvt_aos_kernelILj1024ElffffEEv20rocsparse_operation_lNS_24const_host_device_scalarIT4_EEPKT0_PKT1_PKT2_PT3_21rocsparse_index_base_b.has_indirect_call, 0
	.section	.AMDGPU.csdata,"",@progbits
; Kernel info:
; codeLenInByte = 308
; TotalNumSgprs: 18
; NumVgprs: 7
; ScratchSize: 0
; MemoryBound: 0
; FloatMode: 240
; IeeeMode: 1
; LDSByteSize: 0 bytes/workgroup (compile time only)
; SGPRBlocks: 0
; VGPRBlocks: 0
; NumSGPRsForWavesPerEU: 18
; NumVGPRsForWavesPerEU: 7
; NamedBarCnt: 0
; Occupancy: 16
; WaveLimiterHint : 1
; COMPUTE_PGM_RSRC2:SCRATCH_EN: 0
; COMPUTE_PGM_RSRC2:USER_SGPR: 2
; COMPUTE_PGM_RSRC2:TRAP_HANDLER: 0
; COMPUTE_PGM_RSRC2:TGID_X_EN: 1
; COMPUTE_PGM_RSRC2:TGID_Y_EN: 0
; COMPUTE_PGM_RSRC2:TGID_Z_EN: 0
; COMPUTE_PGM_RSRC2:TIDIG_COMP_CNT: 0
	.section	.text._ZN9rocsparseL26coomvn_aos_segmented_loopsILj256ElffffEEvlT0_NS_24const_host_device_scalarIT4_EEPKS1_PKT1_PKT2_PT3_PS1_PS3_21rocsparse_index_base_b,"axG",@progbits,_ZN9rocsparseL26coomvn_aos_segmented_loopsILj256ElffffEEvlT0_NS_24const_host_device_scalarIT4_EEPKS1_PKT1_PKT2_PT3_PS1_PS3_21rocsparse_index_base_b,comdat
	.globl	_ZN9rocsparseL26coomvn_aos_segmented_loopsILj256ElffffEEvlT0_NS_24const_host_device_scalarIT4_EEPKS1_PKT1_PKT2_PT3_PS1_PS3_21rocsparse_index_base_b ; -- Begin function _ZN9rocsparseL26coomvn_aos_segmented_loopsILj256ElffffEEvlT0_NS_24const_host_device_scalarIT4_EEPKS1_PKT1_PKT2_PT3_PS1_PS3_21rocsparse_index_base_b
	.p2align	8
	.type	_ZN9rocsparseL26coomvn_aos_segmented_loopsILj256ElffffEEvlT0_NS_24const_host_device_scalarIT4_EEPKS1_PKT1_PKT2_PT3_PS1_PS3_21rocsparse_index_base_b,@function
_ZN9rocsparseL26coomvn_aos_segmented_loopsILj256ElffffEEvlT0_NS_24const_host_device_scalarIT4_EEPKS1_PKT1_PKT2_PT3_PS1_PS3_21rocsparse_index_base_b: ; @_ZN9rocsparseL26coomvn_aos_segmented_loopsILj256ElffffEEvlT0_NS_24const_host_device_scalarIT4_EEPKS1_PKT1_PKT2_PT3_PS1_PS3_21rocsparse_index_base_b
; %bb.0:
	s_clause 0x1
	s_load_b64 s[26:27], s[0:1], 0x48
	s_load_b64 s[14:15], s[0:1], 0x10
	s_wait_kmcnt 0x0
	s_bitcmp1_b32 s27, 0
	s_cselect_b32 s2, -1, 0
	s_delay_alu instid0(SALU_CYCLE_1)
	s_and_b32 vcc_lo, exec_lo, s2
	s_cbranch_vccnz .LBB6_2
; %bb.1:
	s_load_b32 s14, s[14:15], 0x0
.LBB6_2:
	s_wait_kmcnt 0x0
	s_cmp_eq_f32 s14, 0
	s_mov_b32 s25, 0
	s_cbranch_scc1 .LBB6_89
; %bb.3:
	s_clause 0x1
	s_load_b128 s[16:19], s[0:1], 0x0
	s_load_b128 s[20:23], s[0:1], 0x18
	s_bfe_u32 s2, ttmp6, 0x4000c
	s_load_b64 s[30:31], s[0:1], 0x28
	s_add_co_i32 s2, s2, 1
	s_and_b32 s3, ttmp6, 15
	s_mul_i32 s2, ttmp9, s2
	s_getreg_b32 s4, hwreg(HW_REG_IB_STS2, 6, 4)
	s_add_co_i32 s3, s3, s2
	s_cmp_eq_u32 s4, 0
	v_mov_b64_e32 v[4:5], -1
	s_cselect_b32 s24, ttmp9, s3
	v_mov_b32_e32 v16, 0
	s_wait_kmcnt 0x0
	s_mul_u64 s[34:35], s[24:25], s[18:19]
	s_delay_alu instid0(SALU_CYCLE_1) | instskip(NEXT) | instid1(SALU_CYCLE_1)
	s_lshl_b64 s[2:3], s[34:35], 8
	v_dual_mov_b32 v7, s3 :: v_dual_bitop2_b32 v6, s2, v0 bitop3:0x54
	s_mov_b32 s2, exec_lo
	s_delay_alu instid0(VALU_DEP_1)
	v_cmpx_gt_i64_e64 s[16:17], v[6:7]
	s_cbranch_execz .LBB6_5
; %bb.4:
	v_lshl_add_u64 v[2:3], v[6:7], 4, s[20:21]
	s_mov_b32 s27, 0
	global_load_b128 v[8:11], v[2:3], off th:TH_LOAD_NT
	s_wait_loadcnt 0x0
	v_lshl_add_u64 v[2:3], v[10:11], 2, s[30:31]
	v_sub_nc_u64_e64 v[4:5], v[8:9], s[26:27]
	s_ashr_i32 s27, s26, 31
	v_lshl_add_u64 v[8:9], v[6:7], 2, s[22:23]
	s_lshl_b64 s[4:5], s[26:27], 2
	s_delay_alu instid0(SALU_CYCLE_1)
	v_sub_nc_u64_e64 v[2:3], v[2:3], s[4:5]
	global_load_b32 v1, v[8:9], off th:TH_LOAD_NT
	global_load_b32 v10, v[2:3], off
	s_wait_loadcnt 0x0
	v_mul_f32_e32 v16, v1, v10
.LBB6_5:
	s_or_b32 exec_lo, exec_lo, s2
	v_dual_lshlrev_b32 v2, 2, v0 :: v_dual_lshlrev_b32 v1, 3, v0
	v_cmp_eq_u32_e64 s2, 0, v0
	v_cmp_ne_u32_e64 s3, 0, v0
	ds_store_b64 v1, v[4:5]
	ds_store_b32 v2, v16 offset:2048
	v_or_b32_e32 v14, 0x800, v2
	v_add_nc_u32_e32 v15, -8, v1
	s_wait_dscnt 0x0
	s_barrier_signal -1
	s_barrier_wait -1
	s_and_saveexec_b32 s4, s3
	s_cbranch_execz .LBB6_9
; %bb.6:
	ds_load_b64 v[8:9], v15
	s_mov_b32 s5, exec_lo
	s_wait_dscnt 0x0
	v_cmpx_eq_u64_e64 v[4:5], v[8:9]
	s_cbranch_execz .LBB6_8
; %bb.7:
	v_add_nc_u32_e32 v3, -4, v14
	ds_load_b32 v3, v3
	s_wait_dscnt 0x0
	v_add_f32_e32 v16, v16, v3
.LBB6_8:
	s_or_b32 exec_lo, exec_lo, s5
.LBB6_9:
	s_delay_alu instid0(SALU_CYCLE_1)
	s_or_b32 exec_lo, exec_lo, s4
	v_cmp_lt_u32_e64 s4, 1, v0
	v_add_nc_u32_e32 v17, -16, v1
	s_barrier_signal -1
	s_barrier_wait -1
	ds_store_b32 v14, v16
	s_wait_dscnt 0x0
	s_barrier_signal -1
	s_barrier_wait -1
	s_and_saveexec_b32 s5, s4
	s_cbranch_execz .LBB6_13
; %bb.10:
	ds_load_b64 v[8:9], v17
	s_mov_b32 s6, exec_lo
	s_wait_dscnt 0x0
	v_cmpx_eq_u64_e64 v[4:5], v[8:9]
	s_cbranch_execz .LBB6_12
; %bb.11:
	v_add_nc_u32_e32 v3, -8, v14
	ds_load_b32 v3, v3
	s_wait_dscnt 0x0
	v_add_f32_e32 v16, v16, v3
.LBB6_12:
	s_or_b32 exec_lo, exec_lo, s6
.LBB6_13:
	s_delay_alu instid0(SALU_CYCLE_1)
	s_or_b32 exec_lo, exec_lo, s5
	v_cmp_lt_u32_e64 s5, 3, v0
	v_subrev_nc_u32_e32 v18, 32, v1
	s_barrier_signal -1
	s_barrier_wait -1
	ds_store_b32 v14, v16
	s_wait_dscnt 0x0
	s_barrier_signal -1
	s_barrier_wait -1
	s_and_saveexec_b32 s6, s5
	s_cbranch_execz .LBB6_17
; %bb.14:
	ds_load_b64 v[8:9], v18
	s_mov_b32 s7, exec_lo
	s_wait_dscnt 0x0
	v_cmpx_eq_u64_e64 v[4:5], v[8:9]
	s_cbranch_execz .LBB6_16
; %bb.15:
	v_add_nc_u32_e32 v3, -16, v14
	ds_load_b32 v3, v3
	s_wait_dscnt 0x0
	v_add_f32_e32 v16, v16, v3
.LBB6_16:
	s_or_b32 exec_lo, exec_lo, s7
.LBB6_17:
	s_delay_alu instid0(SALU_CYCLE_1)
	s_or_b32 exec_lo, exec_lo, s6
	v_cmp_lt_u32_e64 s6, 7, v0
	v_subrev_nc_u32_e32 v19, 64, v1
	s_barrier_signal -1
	s_barrier_wait -1
	ds_store_b32 v14, v16
	s_wait_dscnt 0x0
	s_barrier_signal -1
	s_barrier_wait -1
	s_and_saveexec_b32 s7, s6
	s_cbranch_execz .LBB6_21
; %bb.18:
	ds_load_b64 v[8:9], v19
	s_mov_b32 s8, exec_lo
	s_wait_dscnt 0x0
	v_cmpx_eq_u64_e64 v[4:5], v[8:9]
	s_cbranch_execz .LBB6_20
; %bb.19:
	v_subrev_nc_u32_e32 v3, 32, v14
	ds_load_b32 v3, v3
	s_wait_dscnt 0x0
	v_add_f32_e32 v16, v16, v3
.LBB6_20:
	s_or_b32 exec_lo, exec_lo, s8
.LBB6_21:
	s_delay_alu instid0(SALU_CYCLE_1)
	s_or_b32 exec_lo, exec_lo, s7
	v_cmp_lt_u32_e64 s7, 15, v0
	v_add_nc_u32_e32 v20, 0xffffff80, v1
	s_barrier_signal -1
	s_barrier_wait -1
	ds_store_b32 v14, v16
	s_wait_dscnt 0x0
	s_barrier_signal -1
	s_barrier_wait -1
	s_and_saveexec_b32 s8, s7
	s_cbranch_execz .LBB6_25
; %bb.22:
	ds_load_b64 v[8:9], v20
	s_mov_b32 s9, exec_lo
	s_wait_dscnt 0x0
	v_cmpx_eq_u64_e64 v[4:5], v[8:9]
	s_cbranch_execz .LBB6_24
; %bb.23:
	v_subrev_nc_u32_e32 v3, 64, v14
	ds_load_b32 v3, v3
	s_wait_dscnt 0x0
	v_add_f32_e32 v16, v16, v3
.LBB6_24:
	s_or_b32 exec_lo, exec_lo, s9
.LBB6_25:
	s_delay_alu instid0(SALU_CYCLE_1)
	s_or_b32 exec_lo, exec_lo, s8
	v_cmp_lt_u32_e64 s8, 31, v0
	v_add_nc_u32_e32 v21, 0xffffff00, v1
	s_barrier_signal -1
	s_barrier_wait -1
	ds_store_b32 v14, v16
	s_wait_dscnt 0x0
	s_barrier_signal -1
	s_barrier_wait -1
	s_and_saveexec_b32 s9, s8
	s_cbranch_execz .LBB6_29
; %bb.26:
	ds_load_b64 v[8:9], v21
	s_mov_b32 s10, exec_lo
	s_wait_dscnt 0x0
	v_cmpx_eq_u64_e64 v[4:5], v[8:9]
	s_cbranch_execz .LBB6_28
; %bb.27:
	v_add_nc_u32_e32 v3, 0xffffff80, v14
	ds_load_b32 v3, v3
	s_wait_dscnt 0x0
	v_add_f32_e32 v16, v16, v3
.LBB6_28:
	s_or_b32 exec_lo, exec_lo, s10
.LBB6_29:
	s_delay_alu instid0(SALU_CYCLE_1)
	s_or_b32 exec_lo, exec_lo, s9
	v_cmp_lt_u32_e64 s9, 63, v0
	v_add_nc_u32_e32 v22, 0xfffffe00, v1
	s_barrier_signal -1
	s_barrier_wait -1
	ds_store_b32 v14, v16
	s_wait_dscnt 0x0
	s_barrier_signal -1
	s_barrier_wait -1
	s_and_saveexec_b32 s10, s9
	s_cbranch_execz .LBB6_33
; %bb.30:
	ds_load_b64 v[8:9], v22
	s_mov_b32 s11, exec_lo
	s_wait_dscnt 0x0
	v_cmpx_eq_u64_e64 v[4:5], v[8:9]
	s_cbranch_execz .LBB6_32
; %bb.31:
	v_add_nc_u32_e32 v3, 0xffffff00, v14
	ds_load_b32 v3, v3
	s_wait_dscnt 0x0
	v_add_f32_e32 v16, v16, v3
.LBB6_32:
	s_or_b32 exec_lo, exec_lo, s11
.LBB6_33:
	;; [unrolled: 26-line block ×3, first 2 shown]
	s_delay_alu instid0(SALU_CYCLE_1)
	s_or_b32 exec_lo, exec_lo, s11
	s_load_b64 s[28:29], s[0:1], 0x30
	v_cmp_gt_u32_e64 s11, 0xff, v0
	s_barrier_signal -1
	s_barrier_wait -1
	ds_store_b32 v14, v16
	s_wait_dscnt 0x0
	s_barrier_signal -1
	s_barrier_wait -1
	s_and_saveexec_b32 s13, s11
	s_cbranch_execz .LBB6_40
; %bb.38:
	ds_load_b64 v[8:9], v1 offset:8
	v_cmp_lt_i64_e64 s12, -1, v[4:5]
	s_wait_dscnt 0x0
	v_cmp_ne_u64_e32 vcc_lo, v[4:5], v[8:9]
	s_and_b32 s12, s12, vcc_lo
	s_delay_alu instid0(SALU_CYCLE_1)
	s_and_b32 exec_lo, exec_lo, s12
	s_cbranch_execz .LBB6_40
; %bb.39:
	s_wait_kmcnt 0x0
	v_lshl_add_u64 v[8:9], v[4:5], 2, s[28:29]
	global_load_b32 v3, v[8:9], off
	s_wait_loadcnt 0x0
	v_fmac_f32_e32 v3, s14, v16
	global_store_b32 v[8:9], v3, off
.LBB6_40:
	s_wait_xcnt 0x0
	s_or_b32 exec_lo, exec_lo, s13
	v_cmp_lt_i64_e64 s12, s[18:19], 2
	s_and_b32 vcc_lo, exec_lo, s12
	s_cbranch_vccnz .LBB6_87
; %bb.41:
	v_mov_b32_e32 v3, 0
	s_lshl_b64 s[12:13], s[34:35], 10
	v_add_nc_u64_e32 v[6:7], 0x100, v[6:7]
	s_add_nc_u64 s[12:13], s[22:23], s[12:13]
	s_ashr_i32 s37, s26, 31
	v_add_nc_u64_e32 v[4:5], s[12:13], v[2:3]
	v_lshlrev_b32_e32 v2, 4, v0
	s_lshl_b64 s[12:13], s[34:35], 12
	s_mov_b32 s36, s26
	s_add_nc_u64 s[12:13], s[20:21], s[12:13]
	v_add_nc_u32_e32 v24, -4, v14
	v_add_nc_u64_e32 v[10:11], s[12:13], v[2:3]
	v_add_nc_u64_e32 v[8:9], 0x400, v[4:5]
	v_dual_add_nc_u32 v2, -8, v14 :: v_dual_add_nc_u32 v25, -16, v14
	v_subrev_nc_u32_e32 v26, 32, v14
	v_subrev_nc_u32_e32 v27, 64, v14
	v_add_nc_u32_e32 v28, 0xffffff80, v14
	v_add_nc_u64_e32 v[10:11], 0x1000, v[10:11]
	v_add_nc_u32_e32 v29, 0xffffff00, v14
	v_add_nc_u32_e32 v30, 0xfffffe00, v14
	s_lshl_b64 s[22:23], s[36:37], 2
	s_add_nc_u64 s[18:19], s[18:19], -1
	s_mov_b32 s27, 0
	s_sub_nc_u64 s[20:21], s[30:31], s[22:23]
	s_mov_b64 s[22:23], 0
	s_branch .LBB6_43
.LBB6_42:                               ;   in Loop: Header=BB6_43 Depth=1
	s_wait_xcnt 0x0
	s_or_b32 exec_lo, exec_lo, s13
	s_add_nc_u64 s[22:23], s[22:23], 1
	v_add_nc_u64_e32 v[8:9], 0x400, v[8:9]
	v_cmp_le_u64_e64 s12, s[18:19], s[22:23]
	v_add_nc_u64_e32 v[10:11], 0x1000, v[10:11]
	v_add_nc_u64_e32 v[6:7], 0x100, v[6:7]
	s_and_b32 vcc_lo, exec_lo, s12
	s_cbranch_vccnz .LBB6_87
.LBB6_43:                               ; =>This Inner Loop Header: Depth=1
	v_mov_b64_e32 v[4:5], -1
	v_mov_b32_e32 v16, 0
	s_mov_b32 s12, exec_lo
	s_delay_alu instid0(VALU_DEP_3)
	v_cmpx_gt_i64_e64 s[16:17], v[6:7]
	s_cbranch_execz .LBB6_45
; %bb.44:                               ;   in Loop: Header=BB6_43 Depth=1
	global_load_b128 v[32:35], v[10:11], off th:TH_LOAD_NT
	s_wait_loadcnt 0x0
	v_lshl_add_u64 v[4:5], v[34:35], 2, s[20:21]
	global_load_b32 v12, v[8:9], off th:TH_LOAD_NT
	global_load_b32 v13, v[4:5], off
	s_wait_xcnt 0x0
	v_sub_nc_u64_e64 v[4:5], v[32:33], s[26:27]
	s_wait_loadcnt 0x0
	v_mul_f32_e32 v16, v12, v13
.LBB6_45:                               ;   in Loop: Header=BB6_43 Depth=1
	s_or_b32 exec_lo, exec_lo, s12
	s_and_saveexec_b32 s12, s2
	s_cbranch_execz .LBB6_52
; %bb.46:                               ;   in Loop: Header=BB6_43 Depth=1
	ds_load_b64 v[12:13], v3 offset:2040
	s_mov_b32 s13, exec_lo
	s_wait_dscnt 0x0
	v_cmpx_ne_u64_e64 v[4:5], v[12:13]
	s_xor_b32 s13, exec_lo, s13
	s_cbranch_execz .LBB6_49
; %bb.47:                               ;   in Loop: Header=BB6_43 Depth=1
	v_cmp_gt_i64_e32 vcc_lo, 0, v[12:13]
	s_cbranch_vccnz .LBB6_49
; %bb.48:                               ;   in Loop: Header=BB6_43 Depth=1
	v_lshlrev_b64_e32 v[12:13], 2, v[12:13]
	ds_load_b32 v32, v3 offset:3068
	s_wait_kmcnt 0x0
	v_add_nc_u64_e32 v[12:13], s[28:29], v[12:13]
	global_load_b32 v31, v[12:13], off
	s_wait_loadcnt_dscnt 0x0
	v_fmac_f32_e32 v31, s14, v32
	global_store_b32 v[12:13], v31, off
.LBB6_49:                               ;   in Loop: Header=BB6_43 Depth=1
	s_wait_xcnt 0x0
	s_and_not1_saveexec_b32 s13, s13
	s_cbranch_execz .LBB6_51
; %bb.50:                               ;   in Loop: Header=BB6_43 Depth=1
	ds_load_b32 v12, v3 offset:3068
	s_wait_dscnt 0x0
	v_add_f32_e32 v16, v16, v12
.LBB6_51:                               ;   in Loop: Header=BB6_43 Depth=1
	s_or_b32 exec_lo, exec_lo, s13
.LBB6_52:                               ;   in Loop: Header=BB6_43 Depth=1
	s_delay_alu instid0(SALU_CYCLE_1)
	s_or_b32 exec_lo, exec_lo, s12
	s_wait_storecnt 0x0
	s_barrier_signal -1
	s_barrier_wait -1
	ds_store_b64 v1, v[4:5]
	ds_store_b32 v14, v16
	s_wait_dscnt 0x0
	s_barrier_signal -1
	s_barrier_wait -1
	s_and_saveexec_b32 s12, s3
	s_cbranch_execz .LBB6_56
; %bb.53:                               ;   in Loop: Header=BB6_43 Depth=1
	ds_load_b64 v[12:13], v15
	s_mov_b32 s13, exec_lo
	s_wait_dscnt 0x0
	v_cmpx_eq_u64_e64 v[4:5], v[12:13]
	s_cbranch_execz .LBB6_55
; %bb.54:                               ;   in Loop: Header=BB6_43 Depth=1
	ds_load_b32 v12, v24
	s_wait_dscnt 0x0
	v_add_f32_e32 v16, v16, v12
.LBB6_55:                               ;   in Loop: Header=BB6_43 Depth=1
	s_or_b32 exec_lo, exec_lo, s13
.LBB6_56:                               ;   in Loop: Header=BB6_43 Depth=1
	s_delay_alu instid0(SALU_CYCLE_1)
	s_or_b32 exec_lo, exec_lo, s12
	s_barrier_signal -1
	s_barrier_wait -1
	ds_store_b32 v14, v16
	s_wait_dscnt 0x0
	s_barrier_signal -1
	s_barrier_wait -1
	s_and_saveexec_b32 s12, s4
	s_cbranch_execz .LBB6_60
; %bb.57:                               ;   in Loop: Header=BB6_43 Depth=1
	ds_load_b64 v[12:13], v17
	s_mov_b32 s13, exec_lo
	s_wait_dscnt 0x0
	v_cmpx_eq_u64_e64 v[4:5], v[12:13]
	s_cbranch_execz .LBB6_59
; %bb.58:                               ;   in Loop: Header=BB6_43 Depth=1
	ds_load_b32 v12, v2
	s_wait_dscnt 0x0
	v_add_f32_e32 v16, v16, v12
.LBB6_59:                               ;   in Loop: Header=BB6_43 Depth=1
	s_or_b32 exec_lo, exec_lo, s13
.LBB6_60:                               ;   in Loop: Header=BB6_43 Depth=1
	s_delay_alu instid0(SALU_CYCLE_1)
	s_or_b32 exec_lo, exec_lo, s12
	s_barrier_signal -1
	s_barrier_wait -1
	;; [unrolled: 23-line block ×8, first 2 shown]
	ds_store_b32 v14, v16
	s_wait_dscnt 0x0
	s_barrier_signal -1
	s_barrier_wait -1
	s_and_saveexec_b32 s13, s11
	s_cbranch_execz .LBB6_42
; %bb.85:                               ;   in Loop: Header=BB6_43 Depth=1
	ds_load_b64 v[12:13], v1 offset:8
	v_cmp_lt_i64_e64 s12, -1, v[4:5]
	s_wait_dscnt 0x0
	v_cmp_ne_u64_e32 vcc_lo, v[4:5], v[12:13]
	s_and_b32 s12, s12, vcc_lo
	s_delay_alu instid0(SALU_CYCLE_1)
	s_and_b32 exec_lo, exec_lo, s12
	s_cbranch_execz .LBB6_42
; %bb.86:                               ;   in Loop: Header=BB6_43 Depth=1
	s_wait_kmcnt 0x0
	v_lshl_add_u64 v[12:13], v[4:5], 2, s[28:29]
	global_load_b32 v31, v[12:13], off
	s_wait_loadcnt 0x0
	v_fmac_f32_e32 v31, s14, v16
	global_store_b32 v[12:13], v31, off
	s_branch .LBB6_42
.LBB6_87:
	s_load_b128 s[0:3], s[0:1], 0x38
	s_mov_b32 s4, exec_lo
	v_cmpx_eq_u32_e32 0xff, v0
	s_cbranch_execz .LBB6_89
; %bb.88:
	v_dual_mov_b32 v0, 0 :: v_dual_mul_f32 v1, s14, v16
	s_lshl_b64 s[4:5], s[24:25], 3
	s_lshl_b64 s[6:7], s[24:25], 2
	s_wait_kmcnt 0x0
	s_add_nc_u64 s[0:1], s[0:1], s[4:5]
	s_add_nc_u64 s[2:3], s[2:3], s[6:7]
	s_clause 0x1
	global_store_b64 v0, v[4:5], s[0:1] th:TH_STORE_NT
	global_store_b32 v0, v1, s[2:3] th:TH_STORE_NT
.LBB6_89:
	s_endpgm
	.section	.rodata,"a",@progbits
	.p2align	6, 0x0
	.amdhsa_kernel _ZN9rocsparseL26coomvn_aos_segmented_loopsILj256ElffffEEvlT0_NS_24const_host_device_scalarIT4_EEPKS1_PKT1_PKT2_PT3_PS1_PS3_21rocsparse_index_base_b
		.amdhsa_group_segment_fixed_size 3072
		.amdhsa_private_segment_fixed_size 0
		.amdhsa_kernarg_size 80
		.amdhsa_user_sgpr_count 2
		.amdhsa_user_sgpr_dispatch_ptr 0
		.amdhsa_user_sgpr_queue_ptr 0
		.amdhsa_user_sgpr_kernarg_segment_ptr 1
		.amdhsa_user_sgpr_dispatch_id 0
		.amdhsa_user_sgpr_kernarg_preload_length 0
		.amdhsa_user_sgpr_kernarg_preload_offset 0
		.amdhsa_user_sgpr_private_segment_size 0
		.amdhsa_wavefront_size32 1
		.amdhsa_uses_dynamic_stack 0
		.amdhsa_enable_private_segment 0
		.amdhsa_system_sgpr_workgroup_id_x 1
		.amdhsa_system_sgpr_workgroup_id_y 0
		.amdhsa_system_sgpr_workgroup_id_z 0
		.amdhsa_system_sgpr_workgroup_info 0
		.amdhsa_system_vgpr_workitem_id 0
		.amdhsa_next_free_vgpr 36
		.amdhsa_next_free_sgpr 38
		.amdhsa_named_barrier_count 0
		.amdhsa_reserve_vcc 1
		.amdhsa_float_round_mode_32 0
		.amdhsa_float_round_mode_16_64 0
		.amdhsa_float_denorm_mode_32 3
		.amdhsa_float_denorm_mode_16_64 3
		.amdhsa_fp16_overflow 0
		.amdhsa_memory_ordered 1
		.amdhsa_forward_progress 1
		.amdhsa_inst_pref_size 22
		.amdhsa_round_robin_scheduling 0
		.amdhsa_exception_fp_ieee_invalid_op 0
		.amdhsa_exception_fp_denorm_src 0
		.amdhsa_exception_fp_ieee_div_zero 0
		.amdhsa_exception_fp_ieee_overflow 0
		.amdhsa_exception_fp_ieee_underflow 0
		.amdhsa_exception_fp_ieee_inexact 0
		.amdhsa_exception_int_div_zero 0
	.end_amdhsa_kernel
	.section	.text._ZN9rocsparseL26coomvn_aos_segmented_loopsILj256ElffffEEvlT0_NS_24const_host_device_scalarIT4_EEPKS1_PKT1_PKT2_PT3_PS1_PS3_21rocsparse_index_base_b,"axG",@progbits,_ZN9rocsparseL26coomvn_aos_segmented_loopsILj256ElffffEEvlT0_NS_24const_host_device_scalarIT4_EEPKS1_PKT1_PKT2_PT3_PS1_PS3_21rocsparse_index_base_b,comdat
.Lfunc_end6:
	.size	_ZN9rocsparseL26coomvn_aos_segmented_loopsILj256ElffffEEvlT0_NS_24const_host_device_scalarIT4_EEPKS1_PKT1_PKT2_PT3_PS1_PS3_21rocsparse_index_base_b, .Lfunc_end6-_ZN9rocsparseL26coomvn_aos_segmented_loopsILj256ElffffEEvlT0_NS_24const_host_device_scalarIT4_EEPKS1_PKT1_PKT2_PT3_PS1_PS3_21rocsparse_index_base_b
                                        ; -- End function
	.set _ZN9rocsparseL26coomvn_aos_segmented_loopsILj256ElffffEEvlT0_NS_24const_host_device_scalarIT4_EEPKS1_PKT1_PKT2_PT3_PS1_PS3_21rocsparse_index_base_b.num_vgpr, 36
	.set _ZN9rocsparseL26coomvn_aos_segmented_loopsILj256ElffffEEvlT0_NS_24const_host_device_scalarIT4_EEPKS1_PKT1_PKT2_PT3_PS1_PS3_21rocsparse_index_base_b.num_agpr, 0
	.set _ZN9rocsparseL26coomvn_aos_segmented_loopsILj256ElffffEEvlT0_NS_24const_host_device_scalarIT4_EEPKS1_PKT1_PKT2_PT3_PS1_PS3_21rocsparse_index_base_b.numbered_sgpr, 38
	.set _ZN9rocsparseL26coomvn_aos_segmented_loopsILj256ElffffEEvlT0_NS_24const_host_device_scalarIT4_EEPKS1_PKT1_PKT2_PT3_PS1_PS3_21rocsparse_index_base_b.num_named_barrier, 0
	.set _ZN9rocsparseL26coomvn_aos_segmented_loopsILj256ElffffEEvlT0_NS_24const_host_device_scalarIT4_EEPKS1_PKT1_PKT2_PT3_PS1_PS3_21rocsparse_index_base_b.private_seg_size, 0
	.set _ZN9rocsparseL26coomvn_aos_segmented_loopsILj256ElffffEEvlT0_NS_24const_host_device_scalarIT4_EEPKS1_PKT1_PKT2_PT3_PS1_PS3_21rocsparse_index_base_b.uses_vcc, 1
	.set _ZN9rocsparseL26coomvn_aos_segmented_loopsILj256ElffffEEvlT0_NS_24const_host_device_scalarIT4_EEPKS1_PKT1_PKT2_PT3_PS1_PS3_21rocsparse_index_base_b.uses_flat_scratch, 0
	.set _ZN9rocsparseL26coomvn_aos_segmented_loopsILj256ElffffEEvlT0_NS_24const_host_device_scalarIT4_EEPKS1_PKT1_PKT2_PT3_PS1_PS3_21rocsparse_index_base_b.has_dyn_sized_stack, 0
	.set _ZN9rocsparseL26coomvn_aos_segmented_loopsILj256ElffffEEvlT0_NS_24const_host_device_scalarIT4_EEPKS1_PKT1_PKT2_PT3_PS1_PS3_21rocsparse_index_base_b.has_recursion, 0
	.set _ZN9rocsparseL26coomvn_aos_segmented_loopsILj256ElffffEEvlT0_NS_24const_host_device_scalarIT4_EEPKS1_PKT1_PKT2_PT3_PS1_PS3_21rocsparse_index_base_b.has_indirect_call, 0
	.section	.AMDGPU.csdata,"",@progbits
; Kernel info:
; codeLenInByte = 2768
; TotalNumSgprs: 40
; NumVgprs: 36
; ScratchSize: 0
; MemoryBound: 1
; FloatMode: 240
; IeeeMode: 1
; LDSByteSize: 3072 bytes/workgroup (compile time only)
; SGPRBlocks: 0
; VGPRBlocks: 2
; NumSGPRsForWavesPerEU: 40
; NumVGPRsForWavesPerEU: 36
; NamedBarCnt: 0
; Occupancy: 16
; WaveLimiterHint : 1
; COMPUTE_PGM_RSRC2:SCRATCH_EN: 0
; COMPUTE_PGM_RSRC2:USER_SGPR: 2
; COMPUTE_PGM_RSRC2:TRAP_HANDLER: 0
; COMPUTE_PGM_RSRC2:TGID_X_EN: 1
; COMPUTE_PGM_RSRC2:TGID_Y_EN: 0
; COMPUTE_PGM_RSRC2:TGID_Z_EN: 0
; COMPUTE_PGM_RSRC2:TIDIG_COMP_CNT: 0
	.section	.text._ZN9rocsparseL29coomvn_segmented_loops_reduceILj256ElffEEvT0_NS_24const_host_device_scalarIT2_EEPKS1_PKS3_PT1_b,"axG",@progbits,_ZN9rocsparseL29coomvn_segmented_loops_reduceILj256ElffEEvT0_NS_24const_host_device_scalarIT2_EEPKS1_PKS3_PT1_b,comdat
	.globl	_ZN9rocsparseL29coomvn_segmented_loops_reduceILj256ElffEEvT0_NS_24const_host_device_scalarIT2_EEPKS1_PKS3_PT1_b ; -- Begin function _ZN9rocsparseL29coomvn_segmented_loops_reduceILj256ElffEEvT0_NS_24const_host_device_scalarIT2_EEPKS1_PKS3_PT1_b
	.p2align	8
	.type	_ZN9rocsparseL29coomvn_segmented_loops_reduceILj256ElffEEvT0_NS_24const_host_device_scalarIT2_EEPKS1_PKS3_PT1_b,@function
_ZN9rocsparseL29coomvn_segmented_loops_reduceILj256ElffEEvT0_NS_24const_host_device_scalarIT2_EEPKS1_PKS3_PT1_b: ; @_ZN9rocsparseL29coomvn_segmented_loops_reduceILj256ElffEEvT0_NS_24const_host_device_scalarIT2_EEPKS1_PKS3_PT1_b
; %bb.0:
	s_clause 0x1
	s_load_b32 s2, s[0:1], 0x28
	s_load_b128 s[4:7], s[0:1], 0x0
	s_wait_kmcnt 0x0
	s_bitcmp1_b32 s2, 0
	s_cselect_b32 s2, -1, 0
	s_delay_alu instid0(SALU_CYCLE_1)
	s_and_b32 vcc_lo, exec_lo, s2
	s_cbranch_vccnz .LBB7_2
; %bb.1:
	s_load_b32 s6, s[6:7], 0x0
.LBB7_2:
	s_wait_kmcnt 0x0
	s_cmp_eq_f32 s6, 0
	s_cbranch_scc1 .LBB7_44
; %bb.3:
	v_cmp_lt_i64_e64 s2, s[4:5], 1
	s_and_b32 vcc_lo, exec_lo, s2
	s_cbranch_vccnz .LBB7_44
; %bb.4:
	s_clause 0x1
	s_load_b128 s[8:11], s[0:1], 0x10
	s_load_b64 s[2:3], s[0:1], 0x20
	s_wait_xcnt 0x0
	v_sub_co_u32 v3, s0, v0, 1
	s_xor_b32 s12, s0, -1
	v_sub_co_u32 v5, s0, v0, 2
	v_lshl_add_u32 v14, v3, 2, 0x800
	s_xor_b32 s13, s0, -1
	v_sub_co_u32 v3, s0, v0, 4
	s_delay_alu instid0(VALU_DEP_3) | instskip(SKIP_2) | instid1(VALU_DEP_3)
	v_lshl_add_u32 v16, v5, 2, 0x800
	s_xor_b32 s14, s0, -1
	v_sub_co_u32 v5, s0, v0, 8
	v_lshl_add_u32 v18, v3, 2, 0x800
	s_xor_b32 s15, s0, -1
	v_sub_co_u32 v3, s0, v0, 16
	v_dual_mov_b32 v1, 0 :: v_dual_lshlrev_b32 v4, 2, v0
	v_lshl_add_u32 v20, v5, 2, 0x800
	s_xor_b32 s16, s0, -1
	v_sub_co_u32 v5, s0, v0, 32
	v_lshlrev_b32_e32 v2, 3, v0
	v_lshl_add_u32 v22, v3, 2, 0x800
	v_sub_co_u32 v6, s1, v0, 64
	s_delay_alu instid0(VALU_DEP_4)
	v_lshl_add_u32 v24, v5, 2, 0x800
	v_dual_mov_b32 v5, v1 :: v_dual_mov_b32 v3, v1
	v_subrev_co_u32 v8, s6, 0x80, v0
	v_or_b32_e32 v12, 0x800, v4
	v_lshl_add_u32 v26, v6, 2, 0x800
	s_wait_kmcnt 0x0
	v_add_nc_u64_e32 v[4:5], s[10:11], v[4:5]
	v_add_nc_u64_e32 v[6:7], s[8:9], v[2:3]
	v_dual_add_nc_u32 v13, -8, v2 :: v_dual_add_nc_u32 v15, -16, v2
	v_subrev_nc_u32_e32 v17, 32, v2
	v_subrev_nc_u32_e32 v19, 64, v2
	v_add_nc_u32_e32 v21, 0xffffff80, v2
	s_xor_b32 s17, s0, -1
	v_add_nc_u32_e32 v23, 0xffffff00, v2
	v_add_nc_u32_e32 v25, 0xfffffe00, v2
	;; [unrolled: 1-line block ×3, first 2 shown]
	v_lshl_add_u32 v3, v8, 2, 0x800
	v_cmp_gt_u32_e64 s0, 0xff, v0
	s_xor_b32 s8, s1, -1
	s_xor_b32 s9, s6, -1
	s_mov_b64 s[6:7], 0
	s_branch .LBB7_6
.LBB7_5:                                ;   in Loop: Header=BB7_6 Depth=1
	s_wait_xcnt 0x0
	s_or_b32 exec_lo, exec_lo, s1
	s_add_nc_u64 s[6:7], s[6:7], 0x100
	v_add_nc_u64_e32 v[4:5], 0x400, v[4:5]
	v_cmp_lt_i64_e64 s1, s[6:7], s[4:5]
	v_add_nc_u64_e32 v[6:7], 0x800, v[6:7]
	s_wait_storecnt 0x0
	s_barrier_signal -1
	s_barrier_wait -1
	s_and_b32 vcc_lo, exec_lo, s1
	s_cbranch_vccz .LBB7_44
.LBB7_6:                                ; =>This Inner Loop Header: Depth=1
	v_add_nc_u64_e32 v[8:9], s[6:7], v[0:1]
	v_mov_b32_e32 v10, 0
	s_delay_alu instid0(VALU_DEP_2)
	v_cmp_gt_i64_e32 vcc_lo, s[4:5], v[8:9]
	v_mov_b64_e32 v[8:9], -1
	s_and_saveexec_b32 s1, vcc_lo
	s_cbranch_execz .LBB7_8
; %bb.7:                                ;   in Loop: Header=BB7_6 Depth=1
	global_load_b64 v[8:9], v[6:7], off
	global_load_b32 v10, v[4:5], off
.LBB7_8:                                ;   in Loop: Header=BB7_6 Depth=1
	s_wait_xcnt 0x0
	s_or_b32 exec_lo, exec_lo, s1
	s_wait_loadcnt 0x1
	ds_store_b64 v2, v[8:9]
	s_wait_loadcnt 0x0
	ds_store_b32 v12, v10
	v_dual_mov_b32 v8, 0 :: v_dual_mov_b32 v9, 0
	s_wait_dscnt 0x0
	s_barrier_signal -1
	s_barrier_wait -1
	s_and_saveexec_b32 s1, s12
	s_cbranch_execz .LBB7_12
; %bb.9:                                ;   in Loop: Header=BB7_6 Depth=1
	ds_load_2addr_b64 v[28:31], v13 offset1:1
	v_mov_b32_e32 v9, 0
	s_mov_b32 s10, exec_lo
	s_wait_dscnt 0x0
	v_cmpx_eq_u64_e64 v[30:31], v[28:29]
; %bb.10:                               ;   in Loop: Header=BB7_6 Depth=1
	ds_load_b32 v9, v14
; %bb.11:                               ;   in Loop: Header=BB7_6 Depth=1
	s_or_b32 exec_lo, exec_lo, s10
.LBB7_12:                               ;   in Loop: Header=BB7_6 Depth=1
	s_delay_alu instid0(SALU_CYCLE_1)
	s_or_b32 exec_lo, exec_lo, s1
	s_wait_dscnt 0x0
	s_barrier_signal -1
	s_barrier_wait -1
	ds_load_b32 v10, v12
	s_wait_dscnt 0x0
	v_add_f32_e32 v9, v9, v10
	ds_store_b32 v12, v9
	s_wait_dscnt 0x0
	s_barrier_signal -1
	s_barrier_wait -1
	s_and_saveexec_b32 s1, s13
	s_cbranch_execz .LBB7_16
; %bb.13:                               ;   in Loop: Header=BB7_6 Depth=1
	ds_load_b64 v[8:9], v2
	ds_load_b64 v[10:11], v15
	s_wait_dscnt 0x0
	v_cmp_eq_u64_e32 vcc_lo, v[8:9], v[10:11]
	v_mov_b32_e32 v8, 0
	s_and_saveexec_b32 s10, vcc_lo
; %bb.14:                               ;   in Loop: Header=BB7_6 Depth=1
	ds_load_b32 v8, v16
; %bb.15:                               ;   in Loop: Header=BB7_6 Depth=1
	s_or_b32 exec_lo, exec_lo, s10
.LBB7_16:                               ;   in Loop: Header=BB7_6 Depth=1
	s_delay_alu instid0(SALU_CYCLE_1)
	s_or_b32 exec_lo, exec_lo, s1
	s_wait_dscnt 0x0
	s_barrier_signal -1
	s_barrier_wait -1
	ds_load_b32 v9, v12
	s_wait_dscnt 0x0
	v_dual_add_f32 v10, v8, v9 :: v_dual_mov_b32 v8, 0
	v_mov_b32_e32 v9, 0
	ds_store_b32 v12, v10
	s_wait_dscnt 0x0
	s_barrier_signal -1
	s_barrier_wait -1
	s_and_saveexec_b32 s1, s14
	s_cbranch_execz .LBB7_20
; %bb.17:                               ;   in Loop: Header=BB7_6 Depth=1
	ds_load_b64 v[10:11], v2
	ds_load_b64 v[28:29], v17
	v_mov_b32_e32 v9, 0
	s_mov_b32 s10, exec_lo
	s_wait_dscnt 0x0
	v_cmpx_eq_u64_e64 v[10:11], v[28:29]
; %bb.18:                               ;   in Loop: Header=BB7_6 Depth=1
	ds_load_b32 v9, v18
; %bb.19:                               ;   in Loop: Header=BB7_6 Depth=1
	s_or_b32 exec_lo, exec_lo, s10
.LBB7_20:                               ;   in Loop: Header=BB7_6 Depth=1
	s_delay_alu instid0(SALU_CYCLE_1)
	s_or_b32 exec_lo, exec_lo, s1
	s_wait_dscnt 0x0
	s_barrier_signal -1
	s_barrier_wait -1
	ds_load_b32 v10, v12
	s_wait_dscnt 0x0
	v_add_f32_e32 v9, v9, v10
	ds_store_b32 v12, v9
	s_wait_dscnt 0x0
	s_barrier_signal -1
	s_barrier_wait -1
	s_and_saveexec_b32 s1, s15
	s_cbranch_execz .LBB7_24
; %bb.21:                               ;   in Loop: Header=BB7_6 Depth=1
	ds_load_b64 v[8:9], v2
	ds_load_b64 v[10:11], v19
	s_wait_dscnt 0x0
	v_cmp_eq_u64_e32 vcc_lo, v[8:9], v[10:11]
	v_mov_b32_e32 v8, 0
	s_and_saveexec_b32 s10, vcc_lo
; %bb.22:                               ;   in Loop: Header=BB7_6 Depth=1
	ds_load_b32 v8, v20
; %bb.23:                               ;   in Loop: Header=BB7_6 Depth=1
	s_or_b32 exec_lo, exec_lo, s10
.LBB7_24:                               ;   in Loop: Header=BB7_6 Depth=1
	s_delay_alu instid0(SALU_CYCLE_1)
	s_or_b32 exec_lo, exec_lo, s1
	s_wait_dscnt 0x0
	s_barrier_signal -1
	s_barrier_wait -1
	ds_load_b32 v9, v12
	s_wait_dscnt 0x0
	v_dual_add_f32 v10, v8, v9 :: v_dual_mov_b32 v8, 0
	v_mov_b32_e32 v9, 0
	ds_store_b32 v12, v10
	s_wait_dscnt 0x0
	s_barrier_signal -1
	s_barrier_wait -1
	s_and_saveexec_b32 s1, s16
	s_cbranch_execz .LBB7_28
; %bb.25:                               ;   in Loop: Header=BB7_6 Depth=1
	ds_load_b64 v[10:11], v2
	ds_load_b64 v[28:29], v21
	v_mov_b32_e32 v9, 0
	s_mov_b32 s10, exec_lo
	s_wait_dscnt 0x0
	v_cmpx_eq_u64_e64 v[10:11], v[28:29]
; %bb.26:                               ;   in Loop: Header=BB7_6 Depth=1
	ds_load_b32 v9, v22
; %bb.27:                               ;   in Loop: Header=BB7_6 Depth=1
	s_or_b32 exec_lo, exec_lo, s10
.LBB7_28:                               ;   in Loop: Header=BB7_6 Depth=1
	;; [unrolled: 53-line block ×3, first 2 shown]
	s_delay_alu instid0(SALU_CYCLE_1)
	s_or_b32 exec_lo, exec_lo, s1
	s_wait_dscnt 0x0
	s_barrier_signal -1
	s_barrier_wait -1
	ds_load_b32 v10, v12
	s_wait_dscnt 0x0
	v_add_f32_e32 v9, v9, v10
	ds_store_b32 v12, v9
	s_wait_dscnt 0x0
	s_barrier_signal -1
	s_barrier_wait -1
	s_and_saveexec_b32 s1, s9
	s_cbranch_execz .LBB7_40
; %bb.37:                               ;   in Loop: Header=BB7_6 Depth=1
	ds_load_b64 v[8:9], v2
	ds_load_b64 v[10:11], v27
	s_wait_dscnt 0x0
	v_cmp_eq_u64_e32 vcc_lo, v[8:9], v[10:11]
	v_mov_b32_e32 v8, 0
	s_and_saveexec_b32 s10, vcc_lo
; %bb.38:                               ;   in Loop: Header=BB7_6 Depth=1
	ds_load_b32 v8, v3
; %bb.39:                               ;   in Loop: Header=BB7_6 Depth=1
	s_or_b32 exec_lo, exec_lo, s10
.LBB7_40:                               ;   in Loop: Header=BB7_6 Depth=1
	s_delay_alu instid0(SALU_CYCLE_1)
	s_or_b32 exec_lo, exec_lo, s1
	s_wait_dscnt 0x0
	s_barrier_signal -1
	s_barrier_wait -1
	ds_load_b32 v9, v12
	v_mov_b64_e32 v[10:11], -1
	s_wait_dscnt 0x0
	v_add_f32_e32 v8, v8, v9
	ds_store_b32 v12, v8
	s_wait_dscnt 0x0
	s_barrier_signal -1
	s_barrier_wait -1
	ds_load_b64 v[8:9], v2
	s_and_saveexec_b32 s1, s0
; %bb.41:                               ;   in Loop: Header=BB7_6 Depth=1
	ds_load_b64 v[10:11], v2 offset:8
; %bb.42:                               ;   in Loop: Header=BB7_6 Depth=1
	s_or_b32 exec_lo, exec_lo, s1
	s_wait_dscnt 0x0
	v_cmp_ne_u64_e32 vcc_lo, v[8:9], v[10:11]
	v_cmp_lt_i64_e64 s1, -1, v[8:9]
	s_and_b32 s10, s1, vcc_lo
	s_delay_alu instid0(SALU_CYCLE_1)
	s_and_saveexec_b32 s1, s10
	s_cbranch_execz .LBB7_5
; %bb.43:                               ;   in Loop: Header=BB7_6 Depth=1
	v_lshl_add_u64 v[8:9], v[8:9], 2, s[2:3]
	ds_load_b32 v11, v12
	global_load_b32 v10, v[8:9], off
	s_wait_loadcnt_dscnt 0x0
	v_add_f32_e32 v10, v10, v11
	global_store_b32 v[8:9], v10, off
	s_branch .LBB7_5
.LBB7_44:
	s_endpgm
	.section	.rodata,"a",@progbits
	.p2align	6, 0x0
	.amdhsa_kernel _ZN9rocsparseL29coomvn_segmented_loops_reduceILj256ElffEEvT0_NS_24const_host_device_scalarIT2_EEPKS1_PKS3_PT1_b
		.amdhsa_group_segment_fixed_size 3072
		.amdhsa_private_segment_fixed_size 0
		.amdhsa_kernarg_size 44
		.amdhsa_user_sgpr_count 2
		.amdhsa_user_sgpr_dispatch_ptr 0
		.amdhsa_user_sgpr_queue_ptr 0
		.amdhsa_user_sgpr_kernarg_segment_ptr 1
		.amdhsa_user_sgpr_dispatch_id 0
		.amdhsa_user_sgpr_kernarg_preload_length 0
		.amdhsa_user_sgpr_kernarg_preload_offset 0
		.amdhsa_user_sgpr_private_segment_size 0
		.amdhsa_wavefront_size32 1
		.amdhsa_uses_dynamic_stack 0
		.amdhsa_enable_private_segment 0
		.amdhsa_system_sgpr_workgroup_id_x 1
		.amdhsa_system_sgpr_workgroup_id_y 0
		.amdhsa_system_sgpr_workgroup_id_z 0
		.amdhsa_system_sgpr_workgroup_info 0
		.amdhsa_system_vgpr_workitem_id 0
		.amdhsa_next_free_vgpr 32
		.amdhsa_next_free_sgpr 18
		.amdhsa_named_barrier_count 0
		.amdhsa_reserve_vcc 1
		.amdhsa_float_round_mode_32 0
		.amdhsa_float_round_mode_16_64 0
		.amdhsa_float_denorm_mode_32 3
		.amdhsa_float_denorm_mode_16_64 3
		.amdhsa_fp16_overflow 0
		.amdhsa_memory_ordered 1
		.amdhsa_forward_progress 1
		.amdhsa_inst_pref_size 13
		.amdhsa_round_robin_scheduling 0
		.amdhsa_exception_fp_ieee_invalid_op 0
		.amdhsa_exception_fp_denorm_src 0
		.amdhsa_exception_fp_ieee_div_zero 0
		.amdhsa_exception_fp_ieee_overflow 0
		.amdhsa_exception_fp_ieee_underflow 0
		.amdhsa_exception_fp_ieee_inexact 0
		.amdhsa_exception_int_div_zero 0
	.end_amdhsa_kernel
	.section	.text._ZN9rocsparseL29coomvn_segmented_loops_reduceILj256ElffEEvT0_NS_24const_host_device_scalarIT2_EEPKS1_PKS3_PT1_b,"axG",@progbits,_ZN9rocsparseL29coomvn_segmented_loops_reduceILj256ElffEEvT0_NS_24const_host_device_scalarIT2_EEPKS1_PKS3_PT1_b,comdat
.Lfunc_end7:
	.size	_ZN9rocsparseL29coomvn_segmented_loops_reduceILj256ElffEEvT0_NS_24const_host_device_scalarIT2_EEPKS1_PKS3_PT1_b, .Lfunc_end7-_ZN9rocsparseL29coomvn_segmented_loops_reduceILj256ElffEEvT0_NS_24const_host_device_scalarIT2_EEPKS1_PKS3_PT1_b
                                        ; -- End function
	.set _ZN9rocsparseL29coomvn_segmented_loops_reduceILj256ElffEEvT0_NS_24const_host_device_scalarIT2_EEPKS1_PKS3_PT1_b.num_vgpr, 32
	.set _ZN9rocsparseL29coomvn_segmented_loops_reduceILj256ElffEEvT0_NS_24const_host_device_scalarIT2_EEPKS1_PKS3_PT1_b.num_agpr, 0
	.set _ZN9rocsparseL29coomvn_segmented_loops_reduceILj256ElffEEvT0_NS_24const_host_device_scalarIT2_EEPKS1_PKS3_PT1_b.numbered_sgpr, 18
	.set _ZN9rocsparseL29coomvn_segmented_loops_reduceILj256ElffEEvT0_NS_24const_host_device_scalarIT2_EEPKS1_PKS3_PT1_b.num_named_barrier, 0
	.set _ZN9rocsparseL29coomvn_segmented_loops_reduceILj256ElffEEvT0_NS_24const_host_device_scalarIT2_EEPKS1_PKS3_PT1_b.private_seg_size, 0
	.set _ZN9rocsparseL29coomvn_segmented_loops_reduceILj256ElffEEvT0_NS_24const_host_device_scalarIT2_EEPKS1_PKS3_PT1_b.uses_vcc, 1
	.set _ZN9rocsparseL29coomvn_segmented_loops_reduceILj256ElffEEvT0_NS_24const_host_device_scalarIT2_EEPKS1_PKS3_PT1_b.uses_flat_scratch, 0
	.set _ZN9rocsparseL29coomvn_segmented_loops_reduceILj256ElffEEvT0_NS_24const_host_device_scalarIT2_EEPKS1_PKS3_PT1_b.has_dyn_sized_stack, 0
	.set _ZN9rocsparseL29coomvn_segmented_loops_reduceILj256ElffEEvT0_NS_24const_host_device_scalarIT2_EEPKS1_PKS3_PT1_b.has_recursion, 0
	.set _ZN9rocsparseL29coomvn_segmented_loops_reduceILj256ElffEEvT0_NS_24const_host_device_scalarIT2_EEPKS1_PKS3_PT1_b.has_indirect_call, 0
	.section	.AMDGPU.csdata,"",@progbits
; Kernel info:
; codeLenInByte = 1612
; TotalNumSgprs: 20
; NumVgprs: 32
; ScratchSize: 0
; MemoryBound: 0
; FloatMode: 240
; IeeeMode: 1
; LDSByteSize: 3072 bytes/workgroup (compile time only)
; SGPRBlocks: 0
; VGPRBlocks: 1
; NumSGPRsForWavesPerEU: 20
; NumVGPRsForWavesPerEU: 32
; NamedBarCnt: 0
; Occupancy: 16
; WaveLimiterHint : 0
; COMPUTE_PGM_RSRC2:SCRATCH_EN: 0
; COMPUTE_PGM_RSRC2:USER_SGPR: 2
; COMPUTE_PGM_RSRC2:TRAP_HANDLER: 0
; COMPUTE_PGM_RSRC2:TGID_X_EN: 1
; COMPUTE_PGM_RSRC2:TGID_Y_EN: 0
; COMPUTE_PGM_RSRC2:TGID_Z_EN: 0
; COMPUTE_PGM_RSRC2:TIDIG_COMP_CNT: 0
	.section	.text._ZN9rocsparseL23coomvn_aos_atomic_loopsILj256ELj1EiddddEEvlNS_24const_host_device_scalarIT5_EEPKT1_PKT2_PKT3_PT4_21rocsparse_index_base_b,"axG",@progbits,_ZN9rocsparseL23coomvn_aos_atomic_loopsILj256ELj1EiddddEEvlNS_24const_host_device_scalarIT5_EEPKT1_PKT2_PKT3_PT4_21rocsparse_index_base_b,comdat
	.globl	_ZN9rocsparseL23coomvn_aos_atomic_loopsILj256ELj1EiddddEEvlNS_24const_host_device_scalarIT5_EEPKT1_PKT2_PKT3_PT4_21rocsparse_index_base_b ; -- Begin function _ZN9rocsparseL23coomvn_aos_atomic_loopsILj256ELj1EiddddEEvlNS_24const_host_device_scalarIT5_EEPKT1_PKT2_PKT3_PT4_21rocsparse_index_base_b
	.p2align	8
	.type	_ZN9rocsparseL23coomvn_aos_atomic_loopsILj256ELj1EiddddEEvlNS_24const_host_device_scalarIT5_EEPKT1_PKT2_PKT3_PT4_21rocsparse_index_base_b,@function
_ZN9rocsparseL23coomvn_aos_atomic_loopsILj256ELj1EiddddEEvlNS_24const_host_device_scalarIT5_EEPKT1_PKT2_PKT3_PT4_21rocsparse_index_base_b: ; @_ZN9rocsparseL23coomvn_aos_atomic_loopsILj256ELj1EiddddEEvlNS_24const_host_device_scalarIT5_EEPKT1_PKT2_PKT3_PT4_21rocsparse_index_base_b
; %bb.0:
	s_clause 0x1
	s_load_b64 s[2:3], s[0:1], 0x30
	s_load_b128 s[4:7], s[0:1], 0x0
	s_wait_kmcnt 0x0
	s_bitcmp1_b32 s3, 0
	v_mov_b64_e32 v[2:3], s[6:7]
	s_cselect_b32 s3, -1, 0
	s_delay_alu instid0(SALU_CYCLE_1)
	s_and_b32 vcc_lo, exec_lo, s3
	s_cbranch_vccnz .LBB8_2
; %bb.1:
	v_mov_b32_e32 v1, 0
	flat_load_b64 v[2:3], v1, s[6:7]
.LBB8_2:
	s_mov_b32 s3, exec_lo
	s_wait_loadcnt_dscnt 0x0
	s_delay_alu instid0(VALU_DEP_1)
	v_cmpx_neq_f64_e32 0, v[2:3]
	s_cbranch_execz .LBB8_42
; %bb.3:
	s_bfe_u32 s3, ttmp6, 0x4000c
	s_and_b32 s6, ttmp6, 15
	s_add_co_i32 s3, s3, 1
	s_getreg_b32 s7, hwreg(HW_REG_IB_STS2, 6, 4)
	s_mul_i32 s3, ttmp9, s3
	v_mov_b64_e32 v[4:5], 0
	s_add_co_i32 s6, s6, s3
	s_cmp_eq_u32 s7, 0
	v_dual_mov_b32 v7, 0 :: v_dual_mov_b32 v1, -1
	s_cselect_b32 s3, ttmp9, s6
	s_delay_alu instid0(SALU_CYCLE_1) | instskip(SKIP_1) | instid1(VALU_DEP_1)
	v_lshl_or_b32 v6, s3, 8, v0
	s_mov_b32 s3, exec_lo
	v_cmpx_gt_i64_e64 s[4:5], v[6:7]
	s_cbranch_execz .LBB8_5
; %bb.4:
	s_load_b128 s[4:7], s[0:1], 0x10
	v_lshlrev_b64_e32 v[4:5], 3, v[6:7]
	s_wait_kmcnt 0x0
	s_delay_alu instid0(VALU_DEP_1)
	v_add_nc_u64_e32 v[6:7], s[4:5], v[4:5]
	s_load_b64 s[4:5], s[0:1], 0x20
	v_add_nc_u64_e32 v[4:5], s[6:7], v[4:5]
	global_load_b64 v[6:7], v[6:7], off th:TH_LOAD_NT
	s_wait_loadcnt 0x0
	v_subrev_nc_u32_e32 v1, s2, v7
	global_load_b64 v[8:9], v[4:5], off th:TH_LOAD_NT
	s_wait_kmcnt 0x0
	global_load_b64 v[10:11], v1, s[4:5] scale_offset
	s_wait_xcnt 0x0
	v_subrev_nc_u32_e32 v1, s2, v6
	s_wait_loadcnt 0x0
	v_mul_f64_e32 v[4:5], v[8:9], v[10:11]
.LBB8_5:
	s_or_b32 exec_lo, exec_lo, s3
	v_dual_lshlrev_b32 v8, 2, v0 :: v_dual_lshlrev_b32 v7, 3, v0
	s_mov_b32 s2, exec_lo
	ds_store_b32 v8, v1 offset:2048
	ds_store_b64 v7, v[4:5]
	v_or_b32_e32 v6, 0x800, v8
	s_wait_dscnt 0x0
	s_barrier_signal -1
	s_barrier_wait -1
	v_cmpx_ne_u32_e32 0, v0
	s_cbranch_execz .LBB8_9
; %bb.6:
	v_add_nc_u32_e32 v8, -4, v6
	s_mov_b32 s3, exec_lo
	ds_load_b32 v8, v8
	s_wait_dscnt 0x0
	v_cmpx_eq_u32_e64 v1, v8
	s_cbranch_execz .LBB8_8
; %bb.7:
	v_add_nc_u32_e32 v8, -8, v7
	ds_load_b64 v[8:9], v8
	s_wait_dscnt 0x0
	v_add_f64_e32 v[4:5], v[4:5], v[8:9]
.LBB8_8:
	s_or_b32 exec_lo, exec_lo, s3
.LBB8_9:
	s_delay_alu instid0(SALU_CYCLE_1) | instskip(NEXT) | instid1(SALU_CYCLE_1)
	s_or_b32 exec_lo, exec_lo, s2
	s_mov_b32 s2, exec_lo
	s_barrier_signal -1
	s_barrier_wait -1
	ds_store_b64 v7, v[4:5]
	s_wait_dscnt 0x0
	s_barrier_signal -1
	s_barrier_wait -1
	v_cmpx_lt_u32_e32 1, v0
	s_cbranch_execz .LBB8_13
; %bb.10:
	v_add_nc_u32_e32 v8, -8, v6
	s_mov_b32 s3, exec_lo
	ds_load_b32 v8, v8
	s_wait_dscnt 0x0
	v_cmpx_eq_u32_e64 v1, v8
	s_cbranch_execz .LBB8_12
; %bb.11:
	v_add_nc_u32_e32 v8, -16, v7
	ds_load_b64 v[8:9], v8
	s_wait_dscnt 0x0
	v_add_f64_e32 v[4:5], v[4:5], v[8:9]
.LBB8_12:
	s_or_b32 exec_lo, exec_lo, s3
.LBB8_13:
	s_delay_alu instid0(SALU_CYCLE_1) | instskip(NEXT) | instid1(SALU_CYCLE_1)
	s_or_b32 exec_lo, exec_lo, s2
	s_mov_b32 s2, exec_lo
	s_barrier_signal -1
	s_barrier_wait -1
	ds_store_b64 v7, v[4:5]
	s_wait_dscnt 0x0
	s_barrier_signal -1
	s_barrier_wait -1
	v_cmpx_lt_u32_e32 3, v0
	s_cbranch_execz .LBB8_17
; %bb.14:
	v_add_nc_u32_e32 v8, -16, v6
	s_mov_b32 s3, exec_lo
	ds_load_b32 v8, v8
	s_wait_dscnt 0x0
	v_cmpx_eq_u32_e64 v1, v8
	s_cbranch_execz .LBB8_16
; %bb.15:
	v_subrev_nc_u32_e32 v8, 32, v7
	ds_load_b64 v[8:9], v8
	s_wait_dscnt 0x0
	v_add_f64_e32 v[4:5], v[4:5], v[8:9]
.LBB8_16:
	s_or_b32 exec_lo, exec_lo, s3
.LBB8_17:
	s_delay_alu instid0(SALU_CYCLE_1) | instskip(NEXT) | instid1(SALU_CYCLE_1)
	s_or_b32 exec_lo, exec_lo, s2
	s_mov_b32 s2, exec_lo
	s_barrier_signal -1
	s_barrier_wait -1
	ds_store_b64 v7, v[4:5]
	s_wait_dscnt 0x0
	s_barrier_signal -1
	s_barrier_wait -1
	v_cmpx_lt_u32_e32 7, v0
	s_cbranch_execz .LBB8_21
; %bb.18:
	v_subrev_nc_u32_e32 v8, 32, v6
	s_mov_b32 s3, exec_lo
	ds_load_b32 v8, v8
	s_wait_dscnt 0x0
	v_cmpx_eq_u32_e64 v1, v8
	s_cbranch_execz .LBB8_20
; %bb.19:
	v_subrev_nc_u32_e32 v8, 64, v7
	ds_load_b64 v[8:9], v8
	s_wait_dscnt 0x0
	v_add_f64_e32 v[4:5], v[4:5], v[8:9]
.LBB8_20:
	s_or_b32 exec_lo, exec_lo, s3
.LBB8_21:
	s_delay_alu instid0(SALU_CYCLE_1) | instskip(NEXT) | instid1(SALU_CYCLE_1)
	s_or_b32 exec_lo, exec_lo, s2
	s_mov_b32 s2, exec_lo
	s_barrier_signal -1
	s_barrier_wait -1
	ds_store_b64 v7, v[4:5]
	s_wait_dscnt 0x0
	s_barrier_signal -1
	s_barrier_wait -1
	v_cmpx_lt_u32_e32 15, v0
	s_cbranch_execz .LBB8_25
; %bb.22:
	v_subrev_nc_u32_e32 v8, 64, v6
	s_mov_b32 s3, exec_lo
	ds_load_b32 v8, v8
	s_wait_dscnt 0x0
	v_cmpx_eq_u32_e64 v1, v8
	s_cbranch_execz .LBB8_24
; %bb.23:
	v_add_nc_u32_e32 v8, 0xffffff80, v7
	ds_load_b64 v[8:9], v8
	s_wait_dscnt 0x0
	v_add_f64_e32 v[4:5], v[4:5], v[8:9]
.LBB8_24:
	s_or_b32 exec_lo, exec_lo, s3
.LBB8_25:
	s_delay_alu instid0(SALU_CYCLE_1) | instskip(NEXT) | instid1(SALU_CYCLE_1)
	s_or_b32 exec_lo, exec_lo, s2
	s_mov_b32 s2, exec_lo
	s_barrier_signal -1
	s_barrier_wait -1
	ds_store_b64 v7, v[4:5]
	s_wait_dscnt 0x0
	s_barrier_signal -1
	s_barrier_wait -1
	v_cmpx_lt_u32_e32 31, v0
	s_cbranch_execz .LBB8_29
; %bb.26:
	v_add_nc_u32_e32 v8, 0xffffff80, v6
	s_mov_b32 s3, exec_lo
	ds_load_b32 v8, v8
	s_wait_dscnt 0x0
	v_cmpx_eq_u32_e64 v1, v8
	s_cbranch_execz .LBB8_28
; %bb.27:
	v_add_nc_u32_e32 v8, 0xffffff00, v7
	ds_load_b64 v[8:9], v8
	s_wait_dscnt 0x0
	v_add_f64_e32 v[4:5], v[4:5], v[8:9]
.LBB8_28:
	s_or_b32 exec_lo, exec_lo, s3
.LBB8_29:
	s_delay_alu instid0(SALU_CYCLE_1) | instskip(NEXT) | instid1(SALU_CYCLE_1)
	s_or_b32 exec_lo, exec_lo, s2
	s_mov_b32 s2, exec_lo
	s_barrier_signal -1
	s_barrier_wait -1
	ds_store_b64 v7, v[4:5]
	s_wait_dscnt 0x0
	s_barrier_signal -1
	s_barrier_wait -1
	v_cmpx_lt_u32_e32 63, v0
	s_cbranch_execz .LBB8_33
; %bb.30:
	v_add_nc_u32_e32 v8, 0xffffff00, v6
	s_mov_b32 s3, exec_lo
	ds_load_b32 v8, v8
	s_wait_dscnt 0x0
	v_cmpx_eq_u32_e64 v1, v8
	s_cbranch_execz .LBB8_32
; %bb.31:
	v_add_nc_u32_e32 v8, 0xfffffe00, v7
	ds_load_b64 v[8:9], v8
	s_wait_dscnt 0x0
	v_add_f64_e32 v[4:5], v[4:5], v[8:9]
.LBB8_32:
	s_or_b32 exec_lo, exec_lo, s3
.LBB8_33:
	s_delay_alu instid0(SALU_CYCLE_1)
	s_or_b32 exec_lo, exec_lo, s2
	s_load_b64 s[2:3], s[0:1], 0x28
	s_wait_xcnt 0x0
	s_mov_b32 s0, exec_lo
	s_barrier_signal -1
	s_barrier_wait -1
	ds_store_b64 v7, v[4:5]
	s_wait_dscnt 0x0
	s_barrier_signal -1
	s_barrier_wait -1
	v_cmpx_lt_u32_e32 0x7f, v0
	s_cbranch_execz .LBB8_37
; %bb.34:
	v_add_nc_u32_e32 v8, 0xfffffe00, v6
	s_mov_b32 s1, exec_lo
	ds_load_b32 v8, v8
	s_wait_dscnt 0x0
	v_cmpx_eq_u32_e64 v1, v8
	s_cbranch_execz .LBB8_36
; %bb.35:
	v_add_nc_u32_e32 v8, 0xfffffc00, v7
	ds_load_b64 v[8:9], v8
	s_wait_dscnt 0x0
	v_add_f64_e32 v[4:5], v[4:5], v[8:9]
.LBB8_36:
	s_or_b32 exec_lo, exec_lo, s1
.LBB8_37:
	s_delay_alu instid0(SALU_CYCLE_1) | instskip(NEXT) | instid1(SALU_CYCLE_1)
	s_or_b32 exec_lo, exec_lo, s0
	s_mov_b32 s1, exec_lo
	s_barrier_signal -1
	s_barrier_wait -1
	ds_store_b64 v7, v[4:5]
	s_wait_dscnt 0x0
	s_barrier_signal -1
	s_barrier_wait -1
	v_cmpx_gt_u32_e32 0xff, v0
	s_cbranch_execz .LBB8_40
; %bb.38:
	ds_load_b32 v6, v6 offset:4
	v_cmp_lt_i32_e64 s0, -1, v1
	s_wait_dscnt 0x0
	v_cmp_ne_u32_e32 vcc_lo, v1, v6
	s_and_b32 s0, s0, vcc_lo
	s_delay_alu instid0(SALU_CYCLE_1)
	s_and_b32 exec_lo, exec_lo, s0
	s_cbranch_execz .LBB8_40
; %bb.39:
	v_mul_f64_e32 v[6:7], v[2:3], v[4:5]
	s_wait_kmcnt 0x0
	global_atomic_add_f64 v1, v[6:7], s[2:3] scale_offset scope:SCOPE_DEV
.LBB8_40:
	s_wait_xcnt 0x0
	s_or_b32 exec_lo, exec_lo, s1
	v_cmp_eq_u32_e32 vcc_lo, 0xff, v0
	v_cmp_lt_i32_e64 s0, -1, v1
	s_and_b32 s0, vcc_lo, s0
	s_delay_alu instid0(SALU_CYCLE_1)
	s_and_b32 exec_lo, exec_lo, s0
	s_cbranch_execz .LBB8_42
; %bb.41:
	v_mul_f64_e32 v[2:3], v[2:3], v[4:5]
	s_wait_kmcnt 0x0
	global_atomic_add_f64 v1, v[2:3], s[2:3] scale_offset scope:SCOPE_DEV
.LBB8_42:
	s_endpgm
	.section	.rodata,"a",@progbits
	.p2align	6, 0x0
	.amdhsa_kernel _ZN9rocsparseL23coomvn_aos_atomic_loopsILj256ELj1EiddddEEvlNS_24const_host_device_scalarIT5_EEPKT1_PKT2_PKT3_PT4_21rocsparse_index_base_b
		.amdhsa_group_segment_fixed_size 3072
		.amdhsa_private_segment_fixed_size 0
		.amdhsa_kernarg_size 56
		.amdhsa_user_sgpr_count 2
		.amdhsa_user_sgpr_dispatch_ptr 0
		.amdhsa_user_sgpr_queue_ptr 0
		.amdhsa_user_sgpr_kernarg_segment_ptr 1
		.amdhsa_user_sgpr_dispatch_id 0
		.amdhsa_user_sgpr_kernarg_preload_length 0
		.amdhsa_user_sgpr_kernarg_preload_offset 0
		.amdhsa_user_sgpr_private_segment_size 0
		.amdhsa_wavefront_size32 1
		.amdhsa_uses_dynamic_stack 0
		.amdhsa_enable_private_segment 0
		.amdhsa_system_sgpr_workgroup_id_x 1
		.amdhsa_system_sgpr_workgroup_id_y 0
		.amdhsa_system_sgpr_workgroup_id_z 0
		.amdhsa_system_sgpr_workgroup_info 0
		.amdhsa_system_vgpr_workitem_id 0
		.amdhsa_next_free_vgpr 12
		.amdhsa_next_free_sgpr 8
		.amdhsa_named_barrier_count 0
		.amdhsa_reserve_vcc 1
		.amdhsa_float_round_mode_32 0
		.amdhsa_float_round_mode_16_64 0
		.amdhsa_float_denorm_mode_32 3
		.amdhsa_float_denorm_mode_16_64 3
		.amdhsa_fp16_overflow 0
		.amdhsa_memory_ordered 1
		.amdhsa_forward_progress 1
		.amdhsa_inst_pref_size 11
		.amdhsa_round_robin_scheduling 0
		.amdhsa_exception_fp_ieee_invalid_op 0
		.amdhsa_exception_fp_denorm_src 0
		.amdhsa_exception_fp_ieee_div_zero 0
		.amdhsa_exception_fp_ieee_overflow 0
		.amdhsa_exception_fp_ieee_underflow 0
		.amdhsa_exception_fp_ieee_inexact 0
		.amdhsa_exception_int_div_zero 0
	.end_amdhsa_kernel
	.section	.text._ZN9rocsparseL23coomvn_aos_atomic_loopsILj256ELj1EiddddEEvlNS_24const_host_device_scalarIT5_EEPKT1_PKT2_PKT3_PT4_21rocsparse_index_base_b,"axG",@progbits,_ZN9rocsparseL23coomvn_aos_atomic_loopsILj256ELj1EiddddEEvlNS_24const_host_device_scalarIT5_EEPKT1_PKT2_PKT3_PT4_21rocsparse_index_base_b,comdat
.Lfunc_end8:
	.size	_ZN9rocsparseL23coomvn_aos_atomic_loopsILj256ELj1EiddddEEvlNS_24const_host_device_scalarIT5_EEPKT1_PKT2_PKT3_PT4_21rocsparse_index_base_b, .Lfunc_end8-_ZN9rocsparseL23coomvn_aos_atomic_loopsILj256ELj1EiddddEEvlNS_24const_host_device_scalarIT5_EEPKT1_PKT2_PKT3_PT4_21rocsparse_index_base_b
                                        ; -- End function
	.set _ZN9rocsparseL23coomvn_aos_atomic_loopsILj256ELj1EiddddEEvlNS_24const_host_device_scalarIT5_EEPKT1_PKT2_PKT3_PT4_21rocsparse_index_base_b.num_vgpr, 12
	.set _ZN9rocsparseL23coomvn_aos_atomic_loopsILj256ELj1EiddddEEvlNS_24const_host_device_scalarIT5_EEPKT1_PKT2_PKT3_PT4_21rocsparse_index_base_b.num_agpr, 0
	.set _ZN9rocsparseL23coomvn_aos_atomic_loopsILj256ELj1EiddddEEvlNS_24const_host_device_scalarIT5_EEPKT1_PKT2_PKT3_PT4_21rocsparse_index_base_b.numbered_sgpr, 8
	.set _ZN9rocsparseL23coomvn_aos_atomic_loopsILj256ELj1EiddddEEvlNS_24const_host_device_scalarIT5_EEPKT1_PKT2_PKT3_PT4_21rocsparse_index_base_b.num_named_barrier, 0
	.set _ZN9rocsparseL23coomvn_aos_atomic_loopsILj256ELj1EiddddEEvlNS_24const_host_device_scalarIT5_EEPKT1_PKT2_PKT3_PT4_21rocsparse_index_base_b.private_seg_size, 0
	.set _ZN9rocsparseL23coomvn_aos_atomic_loopsILj256ELj1EiddddEEvlNS_24const_host_device_scalarIT5_EEPKT1_PKT2_PKT3_PT4_21rocsparse_index_base_b.uses_vcc, 1
	.set _ZN9rocsparseL23coomvn_aos_atomic_loopsILj256ELj1EiddddEEvlNS_24const_host_device_scalarIT5_EEPKT1_PKT2_PKT3_PT4_21rocsparse_index_base_b.uses_flat_scratch, 0
	.set _ZN9rocsparseL23coomvn_aos_atomic_loopsILj256ELj1EiddddEEvlNS_24const_host_device_scalarIT5_EEPKT1_PKT2_PKT3_PT4_21rocsparse_index_base_b.has_dyn_sized_stack, 0
	.set _ZN9rocsparseL23coomvn_aos_atomic_loopsILj256ELj1EiddddEEvlNS_24const_host_device_scalarIT5_EEPKT1_PKT2_PKT3_PT4_21rocsparse_index_base_b.has_recursion, 0
	.set _ZN9rocsparseL23coomvn_aos_atomic_loopsILj256ELj1EiddddEEvlNS_24const_host_device_scalarIT5_EEPKT1_PKT2_PKT3_PT4_21rocsparse_index_base_b.has_indirect_call, 0
	.section	.AMDGPU.csdata,"",@progbits
; Kernel info:
; codeLenInByte = 1332
; TotalNumSgprs: 10
; NumVgprs: 12
; ScratchSize: 0
; MemoryBound: 0
; FloatMode: 240
; IeeeMode: 1
; LDSByteSize: 3072 bytes/workgroup (compile time only)
; SGPRBlocks: 0
; VGPRBlocks: 0
; NumSGPRsForWavesPerEU: 10
; NumVGPRsForWavesPerEU: 12
; NamedBarCnt: 0
; Occupancy: 16
; WaveLimiterHint : 1
; COMPUTE_PGM_RSRC2:SCRATCH_EN: 0
; COMPUTE_PGM_RSRC2:USER_SGPR: 2
; COMPUTE_PGM_RSRC2:TRAP_HANDLER: 0
; COMPUTE_PGM_RSRC2:TGID_X_EN: 1
; COMPUTE_PGM_RSRC2:TGID_Y_EN: 0
; COMPUTE_PGM_RSRC2:TGID_Z_EN: 0
; COMPUTE_PGM_RSRC2:TIDIG_COMP_CNT: 0
	.section	.text._ZN9rocsparseL17coomvt_aos_kernelILj1024EiddddEEv20rocsparse_operation_lNS_24const_host_device_scalarIT4_EEPKT0_PKT1_PKT2_PT3_21rocsparse_index_base_b,"axG",@progbits,_ZN9rocsparseL17coomvt_aos_kernelILj1024EiddddEEv20rocsparse_operation_lNS_24const_host_device_scalarIT4_EEPKT0_PKT1_PKT2_PT3_21rocsparse_index_base_b,comdat
	.globl	_ZN9rocsparseL17coomvt_aos_kernelILj1024EiddddEEv20rocsparse_operation_lNS_24const_host_device_scalarIT4_EEPKT0_PKT1_PKT2_PT3_21rocsparse_index_base_b ; -- Begin function _ZN9rocsparseL17coomvt_aos_kernelILj1024EiddddEEv20rocsparse_operation_lNS_24const_host_device_scalarIT4_EEPKT0_PKT1_PKT2_PT3_21rocsparse_index_base_b
	.p2align	8
	.type	_ZN9rocsparseL17coomvt_aos_kernelILj1024EiddddEEv20rocsparse_operation_lNS_24const_host_device_scalarIT4_EEPKT0_PKT1_PKT2_PT3_21rocsparse_index_base_b,@function
_ZN9rocsparseL17coomvt_aos_kernelILj1024EiddddEEv20rocsparse_operation_lNS_24const_host_device_scalarIT4_EEPKT0_PKT1_PKT2_PT3_21rocsparse_index_base_b: ; @_ZN9rocsparseL17coomvt_aos_kernelILj1024EiddddEEv20rocsparse_operation_lNS_24const_host_device_scalarIT4_EEPKT0_PKT1_PKT2_PT3_21rocsparse_index_base_b
; %bb.0:
	s_clause 0x1
	s_load_b64 s[2:3], s[0:1], 0x38
	s_load_b128 s[4:7], s[0:1], 0x8
	s_wait_kmcnt 0x0
	s_bitcmp1_b32 s3, 0
	v_mov_b64_e32 v[2:3], s[6:7]
	s_cselect_b32 s3, -1, 0
	s_delay_alu instid0(SALU_CYCLE_1)
	s_and_b32 vcc_lo, exec_lo, s3
	s_cbranch_vccnz .LBB9_2
; %bb.1:
	v_mov_b32_e32 v1, 0
	flat_load_b64 v[2:3], v1, s[6:7]
.LBB9_2:
	s_mov_b32 s3, exec_lo
	s_wait_loadcnt_dscnt 0x0
	s_delay_alu instid0(VALU_DEP_1)
	v_cmpx_neq_f64_e32 0, v[2:3]
	s_cbranch_execz .LBB9_5
; %bb.3:
	s_load_b32 s3, s[0:1], 0x4c
	s_bfe_u32 s6, ttmp6, 0x4000c
	s_and_b32 s7, ttmp6, 15
	s_add_co_i32 s6, s6, 1
	s_getreg_b32 s8, hwreg(HW_REG_IB_STS2, 6, 4)
	s_mul_i32 s6, ttmp9, s6
	v_mov_b32_e32 v1, 0
	s_add_co_i32 s7, s7, s6
	s_wait_kmcnt 0x0
	s_and_b32 s3, s3, 0xffff
	s_cmp_eq_u32 s8, 0
	s_cselect_b32 s6, ttmp9, s7
	s_delay_alu instid0(SALU_CYCLE_1) | instskip(NEXT) | instid1(VALU_DEP_1)
	v_mad_u32 v0, s6, s3, v0
	v_cmp_gt_i64_e32 vcc_lo, s[4:5], v[0:1]
	s_and_b32 exec_lo, exec_lo, vcc_lo
	s_cbranch_execz .LBB9_5
; %bb.4:
	s_load_b256 s[4:11], s[0:1], 0x18
	v_lshlrev_b64_e32 v[0:1], 3, v[0:1]
	s_wait_kmcnt 0x0
	s_delay_alu instid0(VALU_DEP_1)
	v_add_nc_u64_e32 v[4:5], s[4:5], v[0:1]
	v_add_nc_u64_e32 v[0:1], s[6:7], v[0:1]
	global_load_b64 v[4:5], v[4:5], off
	global_load_b64 v[0:1], v[0:1], off
	s_wait_loadcnt 0x1
	s_wait_xcnt 0x1
	v_subrev_nc_u32_e32 v4, s2, v4
	s_wait_loadcnt 0x0
	v_mul_f64_e32 v[0:1], v[2:3], v[0:1]
	v_subrev_nc_u32_e32 v2, s2, v5
	global_load_b64 v[6:7], v4, s[8:9] scale_offset
	s_wait_loadcnt 0x0
	v_mul_f64_e32 v[0:1], v[0:1], v[6:7]
	global_atomic_add_f64 v2, v[0:1], s[10:11] scale_offset scope:SCOPE_DEV
.LBB9_5:
	s_endpgm
	.section	.rodata,"a",@progbits
	.p2align	6, 0x0
	.amdhsa_kernel _ZN9rocsparseL17coomvt_aos_kernelILj1024EiddddEEv20rocsparse_operation_lNS_24const_host_device_scalarIT4_EEPKT0_PKT1_PKT2_PT3_21rocsparse_index_base_b
		.amdhsa_group_segment_fixed_size 0
		.amdhsa_private_segment_fixed_size 0
		.amdhsa_kernarg_size 320
		.amdhsa_user_sgpr_count 2
		.amdhsa_user_sgpr_dispatch_ptr 0
		.amdhsa_user_sgpr_queue_ptr 0
		.amdhsa_user_sgpr_kernarg_segment_ptr 1
		.amdhsa_user_sgpr_dispatch_id 0
		.amdhsa_user_sgpr_kernarg_preload_length 0
		.amdhsa_user_sgpr_kernarg_preload_offset 0
		.amdhsa_user_sgpr_private_segment_size 0
		.amdhsa_wavefront_size32 1
		.amdhsa_uses_dynamic_stack 0
		.amdhsa_enable_private_segment 0
		.amdhsa_system_sgpr_workgroup_id_x 1
		.amdhsa_system_sgpr_workgroup_id_y 0
		.amdhsa_system_sgpr_workgroup_id_z 0
		.amdhsa_system_sgpr_workgroup_info 0
		.amdhsa_system_vgpr_workitem_id 0
		.amdhsa_next_free_vgpr 8
		.amdhsa_next_free_sgpr 12
		.amdhsa_named_barrier_count 0
		.amdhsa_reserve_vcc 1
		.amdhsa_float_round_mode_32 0
		.amdhsa_float_round_mode_16_64 0
		.amdhsa_float_denorm_mode_32 3
		.amdhsa_float_denorm_mode_16_64 3
		.amdhsa_fp16_overflow 0
		.amdhsa_memory_ordered 1
		.amdhsa_forward_progress 1
		.amdhsa_inst_pref_size 3
		.amdhsa_round_robin_scheduling 0
		.amdhsa_exception_fp_ieee_invalid_op 0
		.amdhsa_exception_fp_denorm_src 0
		.amdhsa_exception_fp_ieee_div_zero 0
		.amdhsa_exception_fp_ieee_overflow 0
		.amdhsa_exception_fp_ieee_underflow 0
		.amdhsa_exception_fp_ieee_inexact 0
		.amdhsa_exception_int_div_zero 0
	.end_amdhsa_kernel
	.section	.text._ZN9rocsparseL17coomvt_aos_kernelILj1024EiddddEEv20rocsparse_operation_lNS_24const_host_device_scalarIT4_EEPKT0_PKT1_PKT2_PT3_21rocsparse_index_base_b,"axG",@progbits,_ZN9rocsparseL17coomvt_aos_kernelILj1024EiddddEEv20rocsparse_operation_lNS_24const_host_device_scalarIT4_EEPKT0_PKT1_PKT2_PT3_21rocsparse_index_base_b,comdat
.Lfunc_end9:
	.size	_ZN9rocsparseL17coomvt_aos_kernelILj1024EiddddEEv20rocsparse_operation_lNS_24const_host_device_scalarIT4_EEPKT0_PKT1_PKT2_PT3_21rocsparse_index_base_b, .Lfunc_end9-_ZN9rocsparseL17coomvt_aos_kernelILj1024EiddddEEv20rocsparse_operation_lNS_24const_host_device_scalarIT4_EEPKT0_PKT1_PKT2_PT3_21rocsparse_index_base_b
                                        ; -- End function
	.set _ZN9rocsparseL17coomvt_aos_kernelILj1024EiddddEEv20rocsparse_operation_lNS_24const_host_device_scalarIT4_EEPKT0_PKT1_PKT2_PT3_21rocsparse_index_base_b.num_vgpr, 8
	.set _ZN9rocsparseL17coomvt_aos_kernelILj1024EiddddEEv20rocsparse_operation_lNS_24const_host_device_scalarIT4_EEPKT0_PKT1_PKT2_PT3_21rocsparse_index_base_b.num_agpr, 0
	.set _ZN9rocsparseL17coomvt_aos_kernelILj1024EiddddEEv20rocsparse_operation_lNS_24const_host_device_scalarIT4_EEPKT0_PKT1_PKT2_PT3_21rocsparse_index_base_b.numbered_sgpr, 12
	.set _ZN9rocsparseL17coomvt_aos_kernelILj1024EiddddEEv20rocsparse_operation_lNS_24const_host_device_scalarIT4_EEPKT0_PKT1_PKT2_PT3_21rocsparse_index_base_b.num_named_barrier, 0
	.set _ZN9rocsparseL17coomvt_aos_kernelILj1024EiddddEEv20rocsparse_operation_lNS_24const_host_device_scalarIT4_EEPKT0_PKT1_PKT2_PT3_21rocsparse_index_base_b.private_seg_size, 0
	.set _ZN9rocsparseL17coomvt_aos_kernelILj1024EiddddEEv20rocsparse_operation_lNS_24const_host_device_scalarIT4_EEPKT0_PKT1_PKT2_PT3_21rocsparse_index_base_b.uses_vcc, 1
	.set _ZN9rocsparseL17coomvt_aos_kernelILj1024EiddddEEv20rocsparse_operation_lNS_24const_host_device_scalarIT4_EEPKT0_PKT1_PKT2_PT3_21rocsparse_index_base_b.uses_flat_scratch, 0
	.set _ZN9rocsparseL17coomvt_aos_kernelILj1024EiddddEEv20rocsparse_operation_lNS_24const_host_device_scalarIT4_EEPKT0_PKT1_PKT2_PT3_21rocsparse_index_base_b.has_dyn_sized_stack, 0
	.set _ZN9rocsparseL17coomvt_aos_kernelILj1024EiddddEEv20rocsparse_operation_lNS_24const_host_device_scalarIT4_EEPKT0_PKT1_PKT2_PT3_21rocsparse_index_base_b.has_recursion, 0
	.set _ZN9rocsparseL17coomvt_aos_kernelILj1024EiddddEEv20rocsparse_operation_lNS_24const_host_device_scalarIT4_EEPKT0_PKT1_PKT2_PT3_21rocsparse_index_base_b.has_indirect_call, 0
	.section	.AMDGPU.csdata,"",@progbits
; Kernel info:
; codeLenInByte = 280
; TotalNumSgprs: 14
; NumVgprs: 8
; ScratchSize: 0
; MemoryBound: 0
; FloatMode: 240
; IeeeMode: 1
; LDSByteSize: 0 bytes/workgroup (compile time only)
; SGPRBlocks: 0
; VGPRBlocks: 0
; NumSGPRsForWavesPerEU: 14
; NumVGPRsForWavesPerEU: 8
; NamedBarCnt: 0
; Occupancy: 16
; WaveLimiterHint : 1
; COMPUTE_PGM_RSRC2:SCRATCH_EN: 0
; COMPUTE_PGM_RSRC2:USER_SGPR: 2
; COMPUTE_PGM_RSRC2:TRAP_HANDLER: 0
; COMPUTE_PGM_RSRC2:TGID_X_EN: 1
; COMPUTE_PGM_RSRC2:TGID_Y_EN: 0
; COMPUTE_PGM_RSRC2:TGID_Z_EN: 0
; COMPUTE_PGM_RSRC2:TIDIG_COMP_CNT: 0
	.section	.text._ZN9rocsparseL26coomvn_aos_segmented_loopsILj256EiddddEEvlT0_NS_24const_host_device_scalarIT4_EEPKS1_PKT1_PKT2_PT3_PS1_PS3_21rocsparse_index_base_b,"axG",@progbits,_ZN9rocsparseL26coomvn_aos_segmented_loopsILj256EiddddEEvlT0_NS_24const_host_device_scalarIT4_EEPKS1_PKT1_PKT2_PT3_PS1_PS3_21rocsparse_index_base_b,comdat
	.globl	_ZN9rocsparseL26coomvn_aos_segmented_loopsILj256EiddddEEvlT0_NS_24const_host_device_scalarIT4_EEPKS1_PKT1_PKT2_PT3_PS1_PS3_21rocsparse_index_base_b ; -- Begin function _ZN9rocsparseL26coomvn_aos_segmented_loopsILj256EiddddEEvlT0_NS_24const_host_device_scalarIT4_EEPKS1_PKT1_PKT2_PT3_PS1_PS3_21rocsparse_index_base_b
	.p2align	8
	.type	_ZN9rocsparseL26coomvn_aos_segmented_loopsILj256EiddddEEvlT0_NS_24const_host_device_scalarIT4_EEPKS1_PKT1_PKT2_PT3_PS1_PS3_21rocsparse_index_base_b,@function
_ZN9rocsparseL26coomvn_aos_segmented_loopsILj256EiddddEEvlT0_NS_24const_host_device_scalarIT4_EEPKS1_PKT1_PKT2_PT3_PS1_PS3_21rocsparse_index_base_b: ; @_ZN9rocsparseL26coomvn_aos_segmented_loopsILj256EiddddEEvlT0_NS_24const_host_device_scalarIT4_EEPKS1_PKT1_PKT2_PT3_PS1_PS3_21rocsparse_index_base_b
; %bb.0:
	s_clause 0x1
	s_load_b64 s[24:25], s[0:1], 0x48
	s_load_b64 s[2:3], s[0:1], 0x10
	s_wait_kmcnt 0x0
	s_bitcmp1_b32 s25, 0
	v_mov_b64_e32 v[2:3], s[2:3]
	s_cselect_b32 s4, -1, 0
	s_delay_alu instid0(SALU_CYCLE_1)
	s_and_b32 vcc_lo, exec_lo, s4
	s_cbranch_vccnz .LBB10_2
; %bb.1:
	v_mov_b32_e32 v1, 0
	flat_load_b64 v[2:3], v1, s[2:3]
.LBB10_2:
	s_wait_xcnt 0x0
	s_mov_b32 s2, exec_lo
	s_wait_loadcnt_dscnt 0x0
	v_cmpx_neq_f64_e32 0, v[2:3]
	s_cbranch_execz .LBB10_89
; %bb.3:
	s_clause 0x2
	s_load_b96 s[20:22], s[0:1], 0x0
	s_load_b128 s[16:19], s[0:1], 0x18
	s_load_b64 s[28:29], s[0:1], 0x28
	s_bfe_u32 s2, ttmp6, 0x4000c
	s_and_b32 s3, ttmp6, 15
	s_add_co_i32 s2, s2, 1
	s_getreg_b32 s4, hwreg(HW_REG_IB_STS2, 6, 4)
	s_mul_i32 s2, ttmp9, s2
	v_mov_b64_e32 v[4:5], 0
	s_add_co_i32 s3, s3, s2
	s_cmp_eq_u32 s4, 0
	v_dual_mov_b32 v7, 0 :: v_dual_mov_b32 v13, -1
	s_cselect_b32 s23, ttmp9, s3
	s_wait_kmcnt 0x0
	s_mul_i32 s2, s23, s22
	s_delay_alu instid0(SALU_CYCLE_1) | instskip(SKIP_1) | instid1(VALU_DEP_1)
	v_lshl_or_b32 v6, s2, 8, v0
	s_mov_b32 s2, exec_lo
	v_cmpx_gt_i64_e64 s[20:21], v[6:7]
	s_cbranch_execz .LBB10_5
; %bb.4:
	v_lshlrev_b64_e32 v[4:5], 3, v[6:7]
	s_ashr_i32 s25, s24, 31
	s_delay_alu instid0(SALU_CYCLE_1) | instskip(NEXT) | instid1(VALU_DEP_1)
	s_lshl_b64 s[4:5], s[24:25], 3
	v_add_nc_u64_e32 v[8:9], s[16:17], v[4:5]
	v_add_nc_u64_e32 v[4:5], s[18:19], v[4:5]
	global_load_b64 v[8:9], v[8:9], off th:TH_LOAD_NT
	s_wait_loadcnt 0x0
	v_dual_mov_b32 v10, v9 :: v_dual_ashrrev_i32 v11, 31, v9
	s_delay_alu instid0(VALU_DEP_1) | instskip(NEXT) | instid1(VALU_DEP_1)
	v_lshl_add_u64 v[10:11], v[10:11], 3, s[28:29]
	v_sub_nc_u64_e64 v[10:11], v[10:11], s[4:5]
	global_load_b64 v[12:13], v[4:5], off th:TH_LOAD_NT
	global_load_b64 v[14:15], v[10:11], off
	s_wait_loadcnt 0x0
	v_mul_f64_e32 v[4:5], v[12:13], v[14:15]
	v_subrev_nc_u32_e32 v13, s24, v8
.LBB10_5:
	s_or_b32 exec_lo, exec_lo, s2
	v_dual_lshlrev_b32 v8, 2, v0 :: v_dual_lshlrev_b32 v1, 3, v0
	v_cmp_eq_u32_e64 s2, 0, v0
	v_cmp_ne_u32_e64 s3, 0, v0
	ds_store_b32 v8, v13 offset:2048
	ds_store_b64 v1, v[4:5]
	v_or_b32_e32 v12, 0x800, v8
	s_wait_dscnt 0x0
	s_barrier_signal -1
	s_barrier_wait -1
	s_delay_alu instid0(VALU_DEP_1)
	v_add_nc_u32_e32 v14, -4, v12
	s_and_saveexec_b32 s4, s3
	s_cbranch_execz .LBB10_9
; %bb.6:
	ds_load_b32 v8, v14
	s_mov_b32 s5, exec_lo
	s_wait_dscnt 0x0
	v_cmpx_eq_u32_e64 v13, v8
	s_cbranch_execz .LBB10_8
; %bb.7:
	v_add_nc_u32_e32 v8, -8, v1
	ds_load_b64 v[8:9], v8
	s_wait_dscnt 0x0
	v_add_f64_e32 v[4:5], v[4:5], v[8:9]
.LBB10_8:
	s_or_b32 exec_lo, exec_lo, s5
.LBB10_9:
	s_delay_alu instid0(SALU_CYCLE_1)
	s_or_b32 exec_lo, exec_lo, s4
	v_cmp_lt_u32_e64 s4, 1, v0
	v_add_nc_u32_e32 v15, -8, v12
	s_barrier_signal -1
	s_barrier_wait -1
	ds_store_b64 v1, v[4:5]
	s_wait_dscnt 0x0
	s_barrier_signal -1
	s_barrier_wait -1
	s_and_saveexec_b32 s5, s4
	s_cbranch_execz .LBB10_13
; %bb.10:
	ds_load_b32 v8, v15
	s_mov_b32 s6, exec_lo
	s_wait_dscnt 0x0
	v_cmpx_eq_u32_e64 v13, v8
	s_cbranch_execz .LBB10_12
; %bb.11:
	v_add_nc_u32_e32 v8, -16, v1
	ds_load_b64 v[8:9], v8
	s_wait_dscnt 0x0
	v_add_f64_e32 v[4:5], v[4:5], v[8:9]
.LBB10_12:
	s_or_b32 exec_lo, exec_lo, s6
.LBB10_13:
	s_delay_alu instid0(SALU_CYCLE_1)
	s_or_b32 exec_lo, exec_lo, s5
	v_cmp_lt_u32_e64 s5, 3, v0
	v_add_nc_u32_e32 v16, -16, v12
	s_barrier_signal -1
	s_barrier_wait -1
	ds_store_b64 v1, v[4:5]
	s_wait_dscnt 0x0
	s_barrier_signal -1
	s_barrier_wait -1
	s_and_saveexec_b32 s6, s5
	s_cbranch_execz .LBB10_17
; %bb.14:
	ds_load_b32 v8, v16
	s_mov_b32 s7, exec_lo
	s_wait_dscnt 0x0
	v_cmpx_eq_u32_e64 v13, v8
	s_cbranch_execz .LBB10_16
; %bb.15:
	v_subrev_nc_u32_e32 v8, 32, v1
	ds_load_b64 v[8:9], v8
	s_wait_dscnt 0x0
	v_add_f64_e32 v[4:5], v[4:5], v[8:9]
.LBB10_16:
	s_or_b32 exec_lo, exec_lo, s7
.LBB10_17:
	s_delay_alu instid0(SALU_CYCLE_1)
	s_or_b32 exec_lo, exec_lo, s6
	v_cmp_lt_u32_e64 s6, 7, v0
	v_subrev_nc_u32_e32 v17, 32, v12
	s_barrier_signal -1
	s_barrier_wait -1
	ds_store_b64 v1, v[4:5]
	s_wait_dscnt 0x0
	s_barrier_signal -1
	s_barrier_wait -1
	s_and_saveexec_b32 s7, s6
	s_cbranch_execz .LBB10_21
; %bb.18:
	ds_load_b32 v8, v17
	s_mov_b32 s8, exec_lo
	s_wait_dscnt 0x0
	v_cmpx_eq_u32_e64 v13, v8
	s_cbranch_execz .LBB10_20
; %bb.19:
	v_subrev_nc_u32_e32 v8, 64, v1
	ds_load_b64 v[8:9], v8
	s_wait_dscnt 0x0
	v_add_f64_e32 v[4:5], v[4:5], v[8:9]
.LBB10_20:
	s_or_b32 exec_lo, exec_lo, s8
.LBB10_21:
	s_delay_alu instid0(SALU_CYCLE_1)
	s_or_b32 exec_lo, exec_lo, s7
	v_cmp_lt_u32_e64 s7, 15, v0
	v_subrev_nc_u32_e32 v18, 64, v12
	s_barrier_signal -1
	s_barrier_wait -1
	ds_store_b64 v1, v[4:5]
	s_wait_dscnt 0x0
	s_barrier_signal -1
	s_barrier_wait -1
	s_and_saveexec_b32 s8, s7
	s_cbranch_execz .LBB10_25
; %bb.22:
	ds_load_b32 v8, v18
	s_mov_b32 s9, exec_lo
	s_wait_dscnt 0x0
	v_cmpx_eq_u32_e64 v13, v8
	s_cbranch_execz .LBB10_24
; %bb.23:
	v_add_nc_u32_e32 v8, 0xffffff80, v1
	ds_load_b64 v[8:9], v8
	s_wait_dscnt 0x0
	v_add_f64_e32 v[4:5], v[4:5], v[8:9]
.LBB10_24:
	s_or_b32 exec_lo, exec_lo, s9
.LBB10_25:
	s_delay_alu instid0(SALU_CYCLE_1)
	s_or_b32 exec_lo, exec_lo, s8
	v_cmp_lt_u32_e64 s8, 31, v0
	v_add_nc_u32_e32 v19, 0xffffff80, v12
	s_barrier_signal -1
	s_barrier_wait -1
	ds_store_b64 v1, v[4:5]
	s_wait_dscnt 0x0
	s_barrier_signal -1
	s_barrier_wait -1
	s_and_saveexec_b32 s9, s8
	s_cbranch_execz .LBB10_29
; %bb.26:
	ds_load_b32 v8, v19
	s_mov_b32 s10, exec_lo
	s_wait_dscnt 0x0
	v_cmpx_eq_u32_e64 v13, v8
	s_cbranch_execz .LBB10_28
; %bb.27:
	v_add_nc_u32_e32 v8, 0xffffff00, v1
	ds_load_b64 v[8:9], v8
	s_wait_dscnt 0x0
	v_add_f64_e32 v[4:5], v[4:5], v[8:9]
.LBB10_28:
	s_or_b32 exec_lo, exec_lo, s10
.LBB10_29:
	s_delay_alu instid0(SALU_CYCLE_1)
	s_or_b32 exec_lo, exec_lo, s9
	v_cmp_lt_u32_e64 s9, 63, v0
	v_add_nc_u32_e32 v20, 0xffffff00, v12
	s_barrier_signal -1
	s_barrier_wait -1
	ds_store_b64 v1, v[4:5]
	s_wait_dscnt 0x0
	s_barrier_signal -1
	s_barrier_wait -1
	s_and_saveexec_b32 s10, s9
	s_cbranch_execz .LBB10_33
; %bb.30:
	ds_load_b32 v8, v20
	s_mov_b32 s11, exec_lo
	s_wait_dscnt 0x0
	v_cmpx_eq_u32_e64 v13, v8
	s_cbranch_execz .LBB10_32
; %bb.31:
	v_add_nc_u32_e32 v8, 0xfffffe00, v1
	ds_load_b64 v[8:9], v8
	s_wait_dscnt 0x0
	v_add_f64_e32 v[4:5], v[4:5], v[8:9]
.LBB10_32:
	s_or_b32 exec_lo, exec_lo, s11
.LBB10_33:
	s_delay_alu instid0(SALU_CYCLE_1)
	s_or_b32 exec_lo, exec_lo, s10
	s_load_b64 s[26:27], s[0:1], 0x30
	v_cmp_lt_u32_e64 s10, 0x7f, v0
	v_add_nc_u32_e32 v21, 0xfffffe00, v12
	s_barrier_signal -1
	s_barrier_wait -1
	ds_store_b64 v1, v[4:5]
	s_wait_dscnt 0x0
	s_barrier_signal -1
	s_barrier_wait -1
	s_and_saveexec_b32 s11, s10
	s_cbranch_execz .LBB10_37
; %bb.34:
	ds_load_b32 v8, v21
	s_mov_b32 s12, exec_lo
	s_wait_dscnt 0x0
	v_cmpx_eq_u32_e64 v13, v8
	s_cbranch_execz .LBB10_36
; %bb.35:
	v_add_nc_u32_e32 v8, 0xfffffc00, v1
	ds_load_b64 v[8:9], v8
	s_wait_dscnt 0x0
	v_add_f64_e32 v[4:5], v[4:5], v[8:9]
.LBB10_36:
	s_or_b32 exec_lo, exec_lo, s12
.LBB10_37:
	s_delay_alu instid0(SALU_CYCLE_1)
	s_or_b32 exec_lo, exec_lo, s11
	v_cmp_gt_u32_e64 s11, 0xff, v0
	s_barrier_signal -1
	s_barrier_wait -1
	ds_store_b64 v1, v[4:5]
	s_wait_dscnt 0x0
	s_barrier_signal -1
	s_barrier_wait -1
	s_and_saveexec_b32 s13, s11
	s_cbranch_execz .LBB10_40
; %bb.38:
	ds_load_b32 v8, v12 offset:4
	v_cmp_lt_i32_e64 s12, -1, v13
	s_wait_dscnt 0x0
	v_cmp_ne_u32_e32 vcc_lo, v13, v8
	s_and_b32 s12, s12, vcc_lo
	s_delay_alu instid0(SALU_CYCLE_1)
	s_and_b32 exec_lo, exec_lo, s12
	s_cbranch_execz .LBB10_40
; %bb.39:
	s_wait_kmcnt 0x0
	global_load_b64 v[8:9], v13, s[26:27] scale_offset
	s_wait_loadcnt 0x0
	v_fmac_f64_e32 v[8:9], v[2:3], v[4:5]
	global_store_b64 v13, v[8:9], s[26:27] scale_offset
.LBB10_40:
	s_wait_xcnt 0x0
	s_or_b32 exec_lo, exec_lo, s13
	s_load_b128 s[12:15], s[0:1], 0x38
	s_cmp_lt_i32 s22, 2
	s_cbranch_scc1 .LBB10_87
; %bb.41:
	v_lshl_add_u64 v[4:5], v[6:7], 3, 0x800
	v_add_nc_u64_e32 v[6:7], 0x100, v[6:7]
	s_ashr_i32 s25, s24, 31
	v_dual_add_nc_u32 v22, -8, v1 :: v_dual_add_nc_u32 v23, -16, v1
	s_delay_alu instid0(VALU_DEP_3)
	v_add_nc_u64_e32 v[8:9], s[18:19], v[4:5]
	v_add_nc_u64_e32 v[10:11], s[16:17], v[4:5]
	v_subrev_nc_u32_e32 v24, 32, v1
	v_subrev_nc_u32_e32 v25, 64, v1
	v_add_nc_u32_e32 v26, 0xffffff80, v1
	v_dual_mov_b32 v30, 0 :: v_dual_add_nc_u32 v27, 0xffffff00, v1
	v_add_nc_u32_e32 v28, 0xfffffe00, v1
	v_add_nc_u32_e32 v29, 0xfffffc00, v1
	s_wait_xcnt 0x0
	s_lshl_b64 s[0:1], s[24:25], 3
	s_delay_alu instid0(SALU_CYCLE_1)
	s_sub_nc_u64 s[16:17], s[28:29], s[0:1]
	s_add_co_i32 s1, s22, -1
	s_branch .LBB10_43
.LBB10_42:                              ;   in Loop: Header=BB10_43 Depth=1
	s_wait_xcnt 0x0
	s_or_b32 exec_lo, exec_lo, s18
	v_add_nc_u64_e32 v[8:9], 0x800, v[8:9]
	v_add_nc_u64_e32 v[10:11], 0x800, v[10:11]
	;; [unrolled: 1-line block ×3, first 2 shown]
	s_add_co_i32 s1, s1, -1
	s_delay_alu instid0(SALU_CYCLE_1)
	s_cmp_eq_u32 s1, 0
	s_cbranch_scc1 .LBB10_87
.LBB10_43:                              ; =>This Inner Loop Header: Depth=1
	v_mov_b64_e32 v[4:5], 0
	v_mov_b32_e32 v13, -1
	s_mov_b32 s0, exec_lo
	v_cmpx_gt_i64_e64 s[20:21], v[6:7]
	s_cbranch_execz .LBB10_45
; %bb.44:                               ;   in Loop: Header=BB10_43 Depth=1
	global_load_b64 v[32:33], v[10:11], off th:TH_LOAD_NT
	global_load_b64 v[4:5], v[8:9], off th:TH_LOAD_NT
	s_wait_loadcnt 0x1
	global_load_b64 v[34:35], v33, s[16:17] scale_offset
	v_subrev_nc_u32_e32 v13, s24, v32
	s_wait_loadcnt 0x0
	v_mul_f64_e32 v[4:5], v[4:5], v[34:35]
.LBB10_45:                              ;   in Loop: Header=BB10_43 Depth=1
	s_wait_xcnt 0x0
	s_or_b32 exec_lo, exec_lo, s0
	s_and_saveexec_b32 s0, s2
	s_cbranch_execz .LBB10_52
; %bb.46:                               ;   in Loop: Header=BB10_43 Depth=1
	ds_load_b32 v31, v30 offset:3068
	s_mov_b32 s18, exec_lo
	s_wait_dscnt 0x0
	v_cmpx_ne_u32_e64 v13, v31
	s_xor_b32 s18, exec_lo, s18
	s_cbranch_execz .LBB10_49
; %bb.47:                               ;   in Loop: Header=BB10_43 Depth=1
	v_cmp_gt_i32_e32 vcc_lo, 0, v31
	s_cbranch_vccnz .LBB10_49
; %bb.48:                               ;   in Loop: Header=BB10_43 Depth=1
	s_wait_kmcnt 0x0
	global_load_b64 v[32:33], v31, s[26:27] scale_offset
	ds_load_b64 v[34:35], v30 offset:2040
	s_wait_loadcnt_dscnt 0x0
	v_fmac_f64_e32 v[32:33], v[2:3], v[34:35]
	global_store_b64 v31, v[32:33], s[26:27] scale_offset
.LBB10_49:                              ;   in Loop: Header=BB10_43 Depth=1
	s_wait_xcnt 0x0
	s_and_not1_saveexec_b32 s18, s18
	s_cbranch_execz .LBB10_51
; %bb.50:                               ;   in Loop: Header=BB10_43 Depth=1
	ds_load_b64 v[32:33], v30 offset:2040
	s_wait_dscnt 0x0
	v_add_f64_e32 v[4:5], v[4:5], v[32:33]
.LBB10_51:                              ;   in Loop: Header=BB10_43 Depth=1
	s_or_b32 exec_lo, exec_lo, s18
.LBB10_52:                              ;   in Loop: Header=BB10_43 Depth=1
	s_delay_alu instid0(SALU_CYCLE_1)
	s_or_b32 exec_lo, exec_lo, s0
	s_wait_storecnt 0x0
	s_barrier_signal -1
	s_barrier_wait -1
	ds_store_b32 v12, v13
	ds_store_b64 v1, v[4:5]
	s_wait_dscnt 0x0
	s_barrier_signal -1
	s_barrier_wait -1
	s_and_saveexec_b32 s0, s3
	s_cbranch_execz .LBB10_56
; %bb.53:                               ;   in Loop: Header=BB10_43 Depth=1
	ds_load_b32 v31, v14
	s_mov_b32 s18, exec_lo
	s_wait_dscnt 0x0
	v_cmpx_eq_u32_e64 v13, v31
	s_cbranch_execz .LBB10_55
; %bb.54:                               ;   in Loop: Header=BB10_43 Depth=1
	ds_load_b64 v[32:33], v22
	s_wait_dscnt 0x0
	v_add_f64_e32 v[4:5], v[4:5], v[32:33]
.LBB10_55:                              ;   in Loop: Header=BB10_43 Depth=1
	s_or_b32 exec_lo, exec_lo, s18
.LBB10_56:                              ;   in Loop: Header=BB10_43 Depth=1
	s_delay_alu instid0(SALU_CYCLE_1)
	s_or_b32 exec_lo, exec_lo, s0
	s_barrier_signal -1
	s_barrier_wait -1
	ds_store_b64 v1, v[4:5]
	s_wait_dscnt 0x0
	s_barrier_signal -1
	s_barrier_wait -1
	s_and_saveexec_b32 s0, s4
	s_cbranch_execz .LBB10_60
; %bb.57:                               ;   in Loop: Header=BB10_43 Depth=1
	ds_load_b32 v31, v15
	s_mov_b32 s18, exec_lo
	s_wait_dscnt 0x0
	v_cmpx_eq_u32_e64 v13, v31
	s_cbranch_execz .LBB10_59
; %bb.58:                               ;   in Loop: Header=BB10_43 Depth=1
	ds_load_b64 v[32:33], v23
	s_wait_dscnt 0x0
	v_add_f64_e32 v[4:5], v[4:5], v[32:33]
.LBB10_59:                              ;   in Loop: Header=BB10_43 Depth=1
	s_or_b32 exec_lo, exec_lo, s18
.LBB10_60:                              ;   in Loop: Header=BB10_43 Depth=1
	s_delay_alu instid0(SALU_CYCLE_1)
	s_or_b32 exec_lo, exec_lo, s0
	s_barrier_signal -1
	s_barrier_wait -1
	;; [unrolled: 23-line block ×8, first 2 shown]
	ds_store_b64 v1, v[4:5]
	s_wait_dscnt 0x0
	s_barrier_signal -1
	s_barrier_wait -1
	s_and_saveexec_b32 s18, s11
	s_cbranch_execz .LBB10_42
; %bb.85:                               ;   in Loop: Header=BB10_43 Depth=1
	ds_load_b32 v31, v12 offset:4
	v_cmp_lt_i32_e64 s0, -1, v13
	s_wait_dscnt 0x0
	v_cmp_ne_u32_e32 vcc_lo, v13, v31
	s_and_b32 s0, s0, vcc_lo
	s_delay_alu instid0(SALU_CYCLE_1)
	s_and_b32 exec_lo, exec_lo, s0
	s_cbranch_execz .LBB10_42
; %bb.86:                               ;   in Loop: Header=BB10_43 Depth=1
	s_wait_kmcnt 0x0
	global_load_b64 v[32:33], v13, s[26:27] scale_offset
	s_wait_loadcnt 0x0
	v_fmac_f64_e32 v[32:33], v[2:3], v[4:5]
	global_store_b64 v13, v[32:33], s[26:27] scale_offset
	s_branch .LBB10_42
.LBB10_87:
	v_cmp_eq_u32_e32 vcc_lo, 0xff, v0
	s_and_b32 exec_lo, exec_lo, vcc_lo
	s_cbranch_execz .LBB10_89
; %bb.88:
	v_dual_mul_f64 v[0:1], v[2:3], v[4:5] :: v_dual_mov_b32 v2, s23
	s_wait_kmcnt 0x0
	s_clause 0x1
	global_store_b32 v2, v13, s[12:13] scale_offset th:TH_STORE_NT
	global_store_b64 v2, v[0:1], s[14:15] scale_offset th:TH_STORE_NT
.LBB10_89:
	s_endpgm
	.section	.rodata,"a",@progbits
	.p2align	6, 0x0
	.amdhsa_kernel _ZN9rocsparseL26coomvn_aos_segmented_loopsILj256EiddddEEvlT0_NS_24const_host_device_scalarIT4_EEPKS1_PKT1_PKT2_PT3_PS1_PS3_21rocsparse_index_base_b
		.amdhsa_group_segment_fixed_size 3072
		.amdhsa_private_segment_fixed_size 0
		.amdhsa_kernarg_size 80
		.amdhsa_user_sgpr_count 2
		.amdhsa_user_sgpr_dispatch_ptr 0
		.amdhsa_user_sgpr_queue_ptr 0
		.amdhsa_user_sgpr_kernarg_segment_ptr 1
		.amdhsa_user_sgpr_dispatch_id 0
		.amdhsa_user_sgpr_kernarg_preload_length 0
		.amdhsa_user_sgpr_kernarg_preload_offset 0
		.amdhsa_user_sgpr_private_segment_size 0
		.amdhsa_wavefront_size32 1
		.amdhsa_uses_dynamic_stack 0
		.amdhsa_enable_private_segment 0
		.amdhsa_system_sgpr_workgroup_id_x 1
		.amdhsa_system_sgpr_workgroup_id_y 0
		.amdhsa_system_sgpr_workgroup_id_z 0
		.amdhsa_system_sgpr_workgroup_info 0
		.amdhsa_system_vgpr_workitem_id 0
		.amdhsa_next_free_vgpr 36
		.amdhsa_next_free_sgpr 30
		.amdhsa_named_barrier_count 0
		.amdhsa_reserve_vcc 1
		.amdhsa_float_round_mode_32 0
		.amdhsa_float_round_mode_16_64 0
		.amdhsa_float_denorm_mode_32 3
		.amdhsa_float_denorm_mode_16_64 3
		.amdhsa_fp16_overflow 0
		.amdhsa_memory_ordered 1
		.amdhsa_forward_progress 1
		.amdhsa_inst_pref_size 22
		.amdhsa_round_robin_scheduling 0
		.amdhsa_exception_fp_ieee_invalid_op 0
		.amdhsa_exception_fp_denorm_src 0
		.amdhsa_exception_fp_ieee_div_zero 0
		.amdhsa_exception_fp_ieee_overflow 0
		.amdhsa_exception_fp_ieee_underflow 0
		.amdhsa_exception_fp_ieee_inexact 0
		.amdhsa_exception_int_div_zero 0
	.end_amdhsa_kernel
	.section	.text._ZN9rocsparseL26coomvn_aos_segmented_loopsILj256EiddddEEvlT0_NS_24const_host_device_scalarIT4_EEPKS1_PKT1_PKT2_PT3_PS1_PS3_21rocsparse_index_base_b,"axG",@progbits,_ZN9rocsparseL26coomvn_aos_segmented_loopsILj256EiddddEEvlT0_NS_24const_host_device_scalarIT4_EEPKS1_PKT1_PKT2_PT3_PS1_PS3_21rocsparse_index_base_b,comdat
.Lfunc_end10:
	.size	_ZN9rocsparseL26coomvn_aos_segmented_loopsILj256EiddddEEvlT0_NS_24const_host_device_scalarIT4_EEPKS1_PKT1_PKT2_PT3_PS1_PS3_21rocsparse_index_base_b, .Lfunc_end10-_ZN9rocsparseL26coomvn_aos_segmented_loopsILj256EiddddEEvlT0_NS_24const_host_device_scalarIT4_EEPKS1_PKT1_PKT2_PT3_PS1_PS3_21rocsparse_index_base_b
                                        ; -- End function
	.set _ZN9rocsparseL26coomvn_aos_segmented_loopsILj256EiddddEEvlT0_NS_24const_host_device_scalarIT4_EEPKS1_PKT1_PKT2_PT3_PS1_PS3_21rocsparse_index_base_b.num_vgpr, 36
	.set _ZN9rocsparseL26coomvn_aos_segmented_loopsILj256EiddddEEvlT0_NS_24const_host_device_scalarIT4_EEPKS1_PKT1_PKT2_PT3_PS1_PS3_21rocsparse_index_base_b.num_agpr, 0
	.set _ZN9rocsparseL26coomvn_aos_segmented_loopsILj256EiddddEEvlT0_NS_24const_host_device_scalarIT4_EEPKS1_PKT1_PKT2_PT3_PS1_PS3_21rocsparse_index_base_b.numbered_sgpr, 30
	.set _ZN9rocsparseL26coomvn_aos_segmented_loopsILj256EiddddEEvlT0_NS_24const_host_device_scalarIT4_EEPKS1_PKT1_PKT2_PT3_PS1_PS3_21rocsparse_index_base_b.num_named_barrier, 0
	.set _ZN9rocsparseL26coomvn_aos_segmented_loopsILj256EiddddEEvlT0_NS_24const_host_device_scalarIT4_EEPKS1_PKT1_PKT2_PT3_PS1_PS3_21rocsparse_index_base_b.private_seg_size, 0
	.set _ZN9rocsparseL26coomvn_aos_segmented_loopsILj256EiddddEEvlT0_NS_24const_host_device_scalarIT4_EEPKS1_PKT1_PKT2_PT3_PS1_PS3_21rocsparse_index_base_b.uses_vcc, 1
	.set _ZN9rocsparseL26coomvn_aos_segmented_loopsILj256EiddddEEvlT0_NS_24const_host_device_scalarIT4_EEPKS1_PKT1_PKT2_PT3_PS1_PS3_21rocsparse_index_base_b.uses_flat_scratch, 0
	.set _ZN9rocsparseL26coomvn_aos_segmented_loopsILj256EiddddEEvlT0_NS_24const_host_device_scalarIT4_EEPKS1_PKT1_PKT2_PT3_PS1_PS3_21rocsparse_index_base_b.has_dyn_sized_stack, 0
	.set _ZN9rocsparseL26coomvn_aos_segmented_loopsILj256EiddddEEvlT0_NS_24const_host_device_scalarIT4_EEPKS1_PKT1_PKT2_PT3_PS1_PS3_21rocsparse_index_base_b.has_recursion, 0
	.set _ZN9rocsparseL26coomvn_aos_segmented_loopsILj256EiddddEEvlT0_NS_24const_host_device_scalarIT4_EEPKS1_PKT1_PKT2_PT3_PS1_PS3_21rocsparse_index_base_b.has_indirect_call, 0
	.section	.AMDGPU.csdata,"",@progbits
; Kernel info:
; codeLenInByte = 2700
; TotalNumSgprs: 32
; NumVgprs: 36
; ScratchSize: 0
; MemoryBound: 1
; FloatMode: 240
; IeeeMode: 1
; LDSByteSize: 3072 bytes/workgroup (compile time only)
; SGPRBlocks: 0
; VGPRBlocks: 2
; NumSGPRsForWavesPerEU: 32
; NumVGPRsForWavesPerEU: 36
; NamedBarCnt: 0
; Occupancy: 16
; WaveLimiterHint : 1
; COMPUTE_PGM_RSRC2:SCRATCH_EN: 0
; COMPUTE_PGM_RSRC2:USER_SGPR: 2
; COMPUTE_PGM_RSRC2:TRAP_HANDLER: 0
; COMPUTE_PGM_RSRC2:TGID_X_EN: 1
; COMPUTE_PGM_RSRC2:TGID_Y_EN: 0
; COMPUTE_PGM_RSRC2:TGID_Z_EN: 0
; COMPUTE_PGM_RSRC2:TIDIG_COMP_CNT: 0
	.section	.text._ZN9rocsparseL29coomvn_segmented_loops_reduceILj256EiddEEvT0_NS_24const_host_device_scalarIT2_EEPKS1_PKS3_PT1_b,"axG",@progbits,_ZN9rocsparseL29coomvn_segmented_loops_reduceILj256EiddEEvT0_NS_24const_host_device_scalarIT2_EEPKS1_PKS3_PT1_b,comdat
	.globl	_ZN9rocsparseL29coomvn_segmented_loops_reduceILj256EiddEEvT0_NS_24const_host_device_scalarIT2_EEPKS1_PKS3_PT1_b ; -- Begin function _ZN9rocsparseL29coomvn_segmented_loops_reduceILj256EiddEEvT0_NS_24const_host_device_scalarIT2_EEPKS1_PKS3_PT1_b
	.p2align	8
	.type	_ZN9rocsparseL29coomvn_segmented_loops_reduceILj256EiddEEvT0_NS_24const_host_device_scalarIT2_EEPKS1_PKS3_PT1_b,@function
_ZN9rocsparseL29coomvn_segmented_loops_reduceILj256EiddEEvT0_NS_24const_host_device_scalarIT2_EEPKS1_PKS3_PT1_b: ; @_ZN9rocsparseL29coomvn_segmented_loops_reduceILj256EiddEEvT0_NS_24const_host_device_scalarIT2_EEPKS1_PKS3_PT1_b
; %bb.0:
	s_clause 0x1
	s_load_b32 s4, s[0:1], 0x28
	s_load_b64 s[2:3], s[0:1], 0x8
	s_wait_kmcnt 0x0
	s_bitcmp1_b32 s4, 0
	v_mov_b64_e32 v[2:3], s[2:3]
	s_cselect_b32 s4, -1, 0
	s_delay_alu instid0(SALU_CYCLE_1)
	s_and_b32 vcc_lo, exec_lo, s4
	s_cbranch_vccnz .LBB11_2
; %bb.1:
	v_mov_b32_e32 v1, 0
	flat_load_b64 v[2:3], v1, s[2:3]
.LBB11_2:
	s_wait_xcnt 0x0
	s_mov_b32 s2, exec_lo
	s_wait_loadcnt_dscnt 0x0
	v_cmpx_neq_f64_e32 0, v[2:3]
	s_cbranch_execz .LBB11_44
; %bb.3:
	s_load_b32 s8, s[0:1], 0x0
	s_wait_kmcnt 0x0
	s_cmp_lt_i32 s8, 1
	s_cbranch_scc1 .LBB11_44
; %bb.4:
	v_sub_co_u32 v2, s9, v0, 1
	s_clause 0x1
	s_load_b128 s[4:7], s[0:1], 0x10
	s_load_b64 s[2:3], s[0:1], 0x20
	s_wait_xcnt 0x0
	v_sub_co_u32 v3, s1, v0, 4
	v_lshl_add_u32 v7, v2, 2, 0x800
	v_sub_co_u32 v2, s0, v0, 2
	s_xor_b32 s10, s0, -1
	s_xor_b32 s11, s1, -1
	v_lshl_add_u32 v11, v3, 2, 0x800
	v_lshl_add_u32 v9, v2, 2, 0x800
	v_sub_co_u32 v2, s0, v0, 8
	v_sub_co_u32 v3, s1, v0, 16
	s_xor_b32 s12, s0, -1
	v_lshl_add_u32 v13, v2, 2, 0x800
	v_sub_co_u32 v2, s0, v0, 32
	v_lshlrev_b32_e32 v6, 3, v0
	s_xor_b32 s13, s1, -1
	v_lshl_add_u32 v15, v3, 2, 0x800
	s_xor_b32 s14, s0, -1
	v_sub_co_u32 v3, s0, v0, 64
	v_subrev_co_u32 v4, s1, 0x80, v0
	v_lshl_or_b32 v1, v0, 2, 0x800
	v_dual_add_nc_u32 v8, -8, v6 :: v_dual_add_nc_u32 v10, -16, v6
	v_subrev_nc_u32_e32 v12, 32, v6
	v_subrev_nc_u32_e32 v14, 64, v6
	v_add_nc_u32_e32 v16, 0xffffff80, v6
	v_lshl_add_u32 v17, v2, 2, 0x800
	v_add_nc_u32_e32 v18, 0xffffff00, v6
	v_lshl_add_u32 v19, v3, 2, 0x800
	;; [unrolled: 2-line block ×3, first 2 shown]
	v_add_nc_u32_e32 v22, 0xfffffc00, v6
	s_xor_b32 s9, s9, -1
	s_xor_b32 s15, s0, -1
	;; [unrolled: 1-line block ×3, first 2 shown]
	s_mov_b32 s17, 0
	v_cmp_gt_u32_e32 vcc_lo, 0xff, v0
	s_branch .LBB11_6
.LBB11_5:                               ;   in Loop: Header=BB11_6 Depth=1
	s_wait_xcnt 0x0
	s_or_b32 exec_lo, exec_lo, s0
	s_addk_co_i32 s17, 0x100
	s_wait_storecnt 0x0
	s_cmp_lt_i32 s17, s8
	s_barrier_signal -1
	s_barrier_wait -1
	s_cbranch_scc0 .LBB11_44
.LBB11_6:                               ; =>This Inner Loop Header: Depth=1
	v_mov_b64_e32 v[2:3], 0
	v_mov_b64_e32 v[4:5], 0
	v_dual_mov_b32 v24, -1 :: v_dual_add_nc_u32 v23, s17, v0
	s_mov_b32 s1, exec_lo
	s_delay_alu instid0(VALU_DEP_1)
	v_cmpx_gt_i32_e64 s8, v23
	s_cbranch_execz .LBB11_8
; %bb.7:                                ;   in Loop: Header=BB11_6 Depth=1
	s_wait_kmcnt 0x0
	s_clause 0x1
	global_load_b32 v24, v23, s[4:5] scale_offset
	global_load_b64 v[4:5], v23, s[6:7] scale_offset
.LBB11_8:                               ;   in Loop: Header=BB11_6 Depth=1
	s_wait_xcnt 0x0
	s_or_b32 exec_lo, exec_lo, s1
	s_wait_loadcnt 0x1
	ds_store_b32 v1, v24
	s_wait_loadcnt 0x0
	ds_store_b64 v6, v[4:5]
	s_wait_dscnt 0x0
	s_barrier_signal -1
	s_barrier_wait -1
	s_and_saveexec_b32 s1, s9
	s_cbranch_execz .LBB11_12
; %bb.9:                                ;   in Loop: Header=BB11_6 Depth=1
	ds_load_2addr_b32 v[4:5], v7 offset1:1
	v_mov_b64_e32 v[2:3], 0
	s_mov_b32 s18, exec_lo
	s_wait_dscnt 0x0
	v_cmpx_eq_u32_e64 v5, v4
; %bb.10:                               ;   in Loop: Header=BB11_6 Depth=1
	ds_load_b64 v[2:3], v8
; %bb.11:                               ;   in Loop: Header=BB11_6 Depth=1
	s_or_b32 exec_lo, exec_lo, s18
.LBB11_12:                              ;   in Loop: Header=BB11_6 Depth=1
	s_delay_alu instid0(SALU_CYCLE_1)
	s_or_b32 exec_lo, exec_lo, s1
	s_wait_dscnt 0x0
	s_barrier_signal -1
	s_barrier_wait -1
	ds_load_b64 v[4:5], v6
	s_wait_dscnt 0x0
	v_add_f64_e32 v[24:25], v[2:3], v[4:5]
	v_mov_b64_e32 v[2:3], 0
	v_mov_b64_e32 v[4:5], 0
	ds_store_b64 v6, v[24:25]
	s_wait_dscnt 0x0
	s_barrier_signal -1
	s_barrier_wait -1
	s_and_saveexec_b32 s1, s10
	s_cbranch_execz .LBB11_16
; %bb.13:                               ;   in Loop: Header=BB11_6 Depth=1
	ds_load_b32 v23, v1
	ds_load_b32 v24, v9
	v_mov_b64_e32 v[4:5], 0
	s_mov_b32 s18, exec_lo
	s_wait_dscnt 0x0
	v_cmpx_eq_u32_e64 v23, v24
; %bb.14:                               ;   in Loop: Header=BB11_6 Depth=1
	ds_load_b64 v[4:5], v10
; %bb.15:                               ;   in Loop: Header=BB11_6 Depth=1
	s_or_b32 exec_lo, exec_lo, s18
.LBB11_16:                              ;   in Loop: Header=BB11_6 Depth=1
	s_delay_alu instid0(SALU_CYCLE_1)
	s_or_b32 exec_lo, exec_lo, s1
	s_wait_dscnt 0x0
	s_barrier_signal -1
	s_barrier_wait -1
	ds_load_b64 v[24:25], v6
	s_wait_dscnt 0x0
	v_add_f64_e32 v[4:5], v[4:5], v[24:25]
	ds_store_b64 v6, v[4:5]
	s_wait_dscnt 0x0
	s_barrier_signal -1
	s_barrier_wait -1
	s_and_saveexec_b32 s1, s11
	s_cbranch_execz .LBB11_20
; %bb.17:                               ;   in Loop: Header=BB11_6 Depth=1
	ds_load_b32 v4, v1
	ds_load_b32 v5, v11
	v_mov_b64_e32 v[2:3], 0
	s_mov_b32 s18, exec_lo
	s_wait_dscnt 0x0
	v_cmpx_eq_u32_e64 v4, v5
; %bb.18:                               ;   in Loop: Header=BB11_6 Depth=1
	ds_load_b64 v[2:3], v12
; %bb.19:                               ;   in Loop: Header=BB11_6 Depth=1
	s_or_b32 exec_lo, exec_lo, s18
.LBB11_20:                              ;   in Loop: Header=BB11_6 Depth=1
	s_delay_alu instid0(SALU_CYCLE_1)
	s_or_b32 exec_lo, exec_lo, s1
	s_wait_dscnt 0x0
	s_barrier_signal -1
	s_barrier_wait -1
	ds_load_b64 v[4:5], v6
	s_wait_dscnt 0x0
	v_add_f64_e32 v[24:25], v[2:3], v[4:5]
	v_mov_b64_e32 v[2:3], 0
	v_mov_b64_e32 v[4:5], 0
	ds_store_b64 v6, v[24:25]
	s_wait_dscnt 0x0
	s_barrier_signal -1
	s_barrier_wait -1
	s_and_saveexec_b32 s1, s12
	s_cbranch_execz .LBB11_24
; %bb.21:                               ;   in Loop: Header=BB11_6 Depth=1
	ds_load_b32 v23, v1
	ds_load_b32 v24, v13
	v_mov_b64_e32 v[4:5], 0
	s_mov_b32 s18, exec_lo
	s_wait_dscnt 0x0
	v_cmpx_eq_u32_e64 v23, v24
; %bb.22:                               ;   in Loop: Header=BB11_6 Depth=1
	ds_load_b64 v[4:5], v14
; %bb.23:                               ;   in Loop: Header=BB11_6 Depth=1
	s_or_b32 exec_lo, exec_lo, s18
.LBB11_24:                              ;   in Loop: Header=BB11_6 Depth=1
	s_delay_alu instid0(SALU_CYCLE_1)
	s_or_b32 exec_lo, exec_lo, s1
	s_wait_dscnt 0x0
	s_barrier_signal -1
	s_barrier_wait -1
	ds_load_b64 v[24:25], v6
	s_wait_dscnt 0x0
	v_add_f64_e32 v[4:5], v[4:5], v[24:25]
	ds_store_b64 v6, v[4:5]
	s_wait_dscnt 0x0
	s_barrier_signal -1
	s_barrier_wait -1
	s_and_saveexec_b32 s1, s13
	s_cbranch_execz .LBB11_28
; %bb.25:                               ;   in Loop: Header=BB11_6 Depth=1
	ds_load_b32 v4, v1
	ds_load_b32 v5, v15
	v_mov_b64_e32 v[2:3], 0
	s_mov_b32 s18, exec_lo
	s_wait_dscnt 0x0
	v_cmpx_eq_u32_e64 v4, v5
; %bb.26:                               ;   in Loop: Header=BB11_6 Depth=1
	ds_load_b64 v[2:3], v16
; %bb.27:                               ;   in Loop: Header=BB11_6 Depth=1
	s_or_b32 exec_lo, exec_lo, s18
.LBB11_28:                              ;   in Loop: Header=BB11_6 Depth=1
	;; [unrolled: 54-line block ×3, first 2 shown]
	s_delay_alu instid0(SALU_CYCLE_1)
	s_or_b32 exec_lo, exec_lo, s1
	s_wait_dscnt 0x0
	s_barrier_signal -1
	s_barrier_wait -1
	ds_load_b64 v[4:5], v6
	s_wait_dscnt 0x0
	v_add_f64_e32 v[4:5], v[2:3], v[4:5]
	v_mov_b64_e32 v[2:3], 0
	ds_store_b64 v6, v[4:5]
	s_wait_dscnt 0x0
	s_barrier_signal -1
	s_barrier_wait -1
	s_and_saveexec_b32 s1, s16
	s_cbranch_execz .LBB11_40
; %bb.37:                               ;   in Loop: Header=BB11_6 Depth=1
	ds_load_b32 v4, v1
	ds_load_b32 v5, v21
	v_mov_b64_e32 v[2:3], 0
	s_mov_b32 s18, exec_lo
	s_wait_dscnt 0x0
	v_cmpx_eq_u32_e64 v4, v5
; %bb.38:                               ;   in Loop: Header=BB11_6 Depth=1
	ds_load_b64 v[2:3], v22
; %bb.39:                               ;   in Loop: Header=BB11_6 Depth=1
	s_or_b32 exec_lo, exec_lo, s18
.LBB11_40:                              ;   in Loop: Header=BB11_6 Depth=1
	s_delay_alu instid0(SALU_CYCLE_1)
	s_or_b32 exec_lo, exec_lo, s1
	s_wait_dscnt 0x0
	s_barrier_signal -1
	s_barrier_wait -1
	ds_load_b64 v[4:5], v6
	s_wait_dscnt 0x0
	v_add_f64_e32 v[2:3], v[2:3], v[4:5]
	ds_store_b64 v6, v[2:3]
	s_wait_dscnt 0x0
	s_barrier_signal -1
	s_barrier_wait -1
	ds_load_b32 v2, v1
	v_mov_b32_e32 v3, -1
	s_and_saveexec_b32 s0, vcc_lo
; %bb.41:                               ;   in Loop: Header=BB11_6 Depth=1
	ds_load_b32 v3, v1 offset:4
; %bb.42:                               ;   in Loop: Header=BB11_6 Depth=1
	s_or_b32 exec_lo, exec_lo, s0
	s_wait_dscnt 0x0
	v_cmp_ne_u32_e64 s0, v2, v3
	v_cmp_lt_i32_e64 s1, -1, v2
	s_and_b32 s1, s1, s0
	s_delay_alu instid0(SALU_CYCLE_1)
	s_and_saveexec_b32 s0, s1
	s_cbranch_execz .LBB11_5
; %bb.43:                               ;   in Loop: Header=BB11_6 Depth=1
	s_wait_kmcnt 0x0
	global_load_b64 v[4:5], v2, s[2:3] scale_offset
	ds_load_b64 v[24:25], v6
	s_wait_loadcnt_dscnt 0x0
	v_add_f64_e32 v[4:5], v[4:5], v[24:25]
	global_store_b64 v2, v[4:5], s[2:3] scale_offset
	s_branch .LBB11_5
.LBB11_44:
	s_endpgm
	.section	.rodata,"a",@progbits
	.p2align	6, 0x0
	.amdhsa_kernel _ZN9rocsparseL29coomvn_segmented_loops_reduceILj256EiddEEvT0_NS_24const_host_device_scalarIT2_EEPKS1_PKS3_PT1_b
		.amdhsa_group_segment_fixed_size 3072
		.amdhsa_private_segment_fixed_size 0
		.amdhsa_kernarg_size 44
		.amdhsa_user_sgpr_count 2
		.amdhsa_user_sgpr_dispatch_ptr 0
		.amdhsa_user_sgpr_queue_ptr 0
		.amdhsa_user_sgpr_kernarg_segment_ptr 1
		.amdhsa_user_sgpr_dispatch_id 0
		.amdhsa_user_sgpr_kernarg_preload_length 0
		.amdhsa_user_sgpr_kernarg_preload_offset 0
		.amdhsa_user_sgpr_private_segment_size 0
		.amdhsa_wavefront_size32 1
		.amdhsa_uses_dynamic_stack 0
		.amdhsa_enable_private_segment 0
		.amdhsa_system_sgpr_workgroup_id_x 1
		.amdhsa_system_sgpr_workgroup_id_y 0
		.amdhsa_system_sgpr_workgroup_id_z 0
		.amdhsa_system_sgpr_workgroup_info 0
		.amdhsa_system_vgpr_workitem_id 0
		.amdhsa_next_free_vgpr 26
		.amdhsa_next_free_sgpr 19
		.amdhsa_named_barrier_count 0
		.amdhsa_reserve_vcc 1
		.amdhsa_float_round_mode_32 0
		.amdhsa_float_round_mode_16_64 0
		.amdhsa_float_denorm_mode_32 3
		.amdhsa_float_denorm_mode_16_64 3
		.amdhsa_fp16_overflow 0
		.amdhsa_memory_ordered 1
		.amdhsa_forward_progress 1
		.amdhsa_inst_pref_size 13
		.amdhsa_round_robin_scheduling 0
		.amdhsa_exception_fp_ieee_invalid_op 0
		.amdhsa_exception_fp_denorm_src 0
		.amdhsa_exception_fp_ieee_div_zero 0
		.amdhsa_exception_fp_ieee_overflow 0
		.amdhsa_exception_fp_ieee_underflow 0
		.amdhsa_exception_fp_ieee_inexact 0
		.amdhsa_exception_int_div_zero 0
	.end_amdhsa_kernel
	.section	.text._ZN9rocsparseL29coomvn_segmented_loops_reduceILj256EiddEEvT0_NS_24const_host_device_scalarIT2_EEPKS1_PKS3_PT1_b,"axG",@progbits,_ZN9rocsparseL29coomvn_segmented_loops_reduceILj256EiddEEvT0_NS_24const_host_device_scalarIT2_EEPKS1_PKS3_PT1_b,comdat
.Lfunc_end11:
	.size	_ZN9rocsparseL29coomvn_segmented_loops_reduceILj256EiddEEvT0_NS_24const_host_device_scalarIT2_EEPKS1_PKS3_PT1_b, .Lfunc_end11-_ZN9rocsparseL29coomvn_segmented_loops_reduceILj256EiddEEvT0_NS_24const_host_device_scalarIT2_EEPKS1_PKS3_PT1_b
                                        ; -- End function
	.set _ZN9rocsparseL29coomvn_segmented_loops_reduceILj256EiddEEvT0_NS_24const_host_device_scalarIT2_EEPKS1_PKS3_PT1_b.num_vgpr, 26
	.set _ZN9rocsparseL29coomvn_segmented_loops_reduceILj256EiddEEvT0_NS_24const_host_device_scalarIT2_EEPKS1_PKS3_PT1_b.num_agpr, 0
	.set _ZN9rocsparseL29coomvn_segmented_loops_reduceILj256EiddEEvT0_NS_24const_host_device_scalarIT2_EEPKS1_PKS3_PT1_b.numbered_sgpr, 19
	.set _ZN9rocsparseL29coomvn_segmented_loops_reduceILj256EiddEEvT0_NS_24const_host_device_scalarIT2_EEPKS1_PKS3_PT1_b.num_named_barrier, 0
	.set _ZN9rocsparseL29coomvn_segmented_loops_reduceILj256EiddEEvT0_NS_24const_host_device_scalarIT2_EEPKS1_PKS3_PT1_b.private_seg_size, 0
	.set _ZN9rocsparseL29coomvn_segmented_loops_reduceILj256EiddEEvT0_NS_24const_host_device_scalarIT2_EEPKS1_PKS3_PT1_b.uses_vcc, 1
	.set _ZN9rocsparseL29coomvn_segmented_loops_reduceILj256EiddEEvT0_NS_24const_host_device_scalarIT2_EEPKS1_PKS3_PT1_b.uses_flat_scratch, 0
	.set _ZN9rocsparseL29coomvn_segmented_loops_reduceILj256EiddEEvT0_NS_24const_host_device_scalarIT2_EEPKS1_PKS3_PT1_b.has_dyn_sized_stack, 0
	.set _ZN9rocsparseL29coomvn_segmented_loops_reduceILj256EiddEEvT0_NS_24const_host_device_scalarIT2_EEPKS1_PKS3_PT1_b.has_recursion, 0
	.set _ZN9rocsparseL29coomvn_segmented_loops_reduceILj256EiddEEvT0_NS_24const_host_device_scalarIT2_EEPKS1_PKS3_PT1_b.has_indirect_call, 0
	.section	.AMDGPU.csdata,"",@progbits
; Kernel info:
; codeLenInByte = 1584
; TotalNumSgprs: 21
; NumVgprs: 26
; ScratchSize: 0
; MemoryBound: 0
; FloatMode: 240
; IeeeMode: 1
; LDSByteSize: 3072 bytes/workgroup (compile time only)
; SGPRBlocks: 0
; VGPRBlocks: 1
; NumSGPRsForWavesPerEU: 21
; NumVGPRsForWavesPerEU: 26
; NamedBarCnt: 0
; Occupancy: 16
; WaveLimiterHint : 0
; COMPUTE_PGM_RSRC2:SCRATCH_EN: 0
; COMPUTE_PGM_RSRC2:USER_SGPR: 2
; COMPUTE_PGM_RSRC2:TRAP_HANDLER: 0
; COMPUTE_PGM_RSRC2:TGID_X_EN: 1
; COMPUTE_PGM_RSRC2:TGID_Y_EN: 0
; COMPUTE_PGM_RSRC2:TGID_Z_EN: 0
; COMPUTE_PGM_RSRC2:TIDIG_COMP_CNT: 0
	.section	.text._ZN9rocsparseL23coomvn_aos_atomic_loopsILj256ELj1ElddddEEvlNS_24const_host_device_scalarIT5_EEPKT1_PKT2_PKT3_PT4_21rocsparse_index_base_b,"axG",@progbits,_ZN9rocsparseL23coomvn_aos_atomic_loopsILj256ELj1ElddddEEvlNS_24const_host_device_scalarIT5_EEPKT1_PKT2_PKT3_PT4_21rocsparse_index_base_b,comdat
	.globl	_ZN9rocsparseL23coomvn_aos_atomic_loopsILj256ELj1ElddddEEvlNS_24const_host_device_scalarIT5_EEPKT1_PKT2_PKT3_PT4_21rocsparse_index_base_b ; -- Begin function _ZN9rocsparseL23coomvn_aos_atomic_loopsILj256ELj1ElddddEEvlNS_24const_host_device_scalarIT5_EEPKT1_PKT2_PKT3_PT4_21rocsparse_index_base_b
	.p2align	8
	.type	_ZN9rocsparseL23coomvn_aos_atomic_loopsILj256ELj1ElddddEEvlNS_24const_host_device_scalarIT5_EEPKT1_PKT2_PKT3_PT4_21rocsparse_index_base_b,@function
_ZN9rocsparseL23coomvn_aos_atomic_loopsILj256ELj1ElddddEEvlNS_24const_host_device_scalarIT5_EEPKT1_PKT2_PKT3_PT4_21rocsparse_index_base_b: ; @_ZN9rocsparseL23coomvn_aos_atomic_loopsILj256ELj1ElddddEEvlNS_24const_host_device_scalarIT5_EEPKT1_PKT2_PKT3_PT4_21rocsparse_index_base_b
; %bb.0:
	s_clause 0x1
	s_load_b64 s[2:3], s[0:1], 0x30
	s_load_b128 s[4:7], s[0:1], 0x0
	s_wait_kmcnt 0x0
	s_bitcmp1_b32 s3, 0
	v_mov_b64_e32 v[2:3], s[6:7]
	s_cselect_b32 s3, -1, 0
	s_delay_alu instid0(SALU_CYCLE_1)
	s_and_b32 vcc_lo, exec_lo, s3
	s_cbranch_vccnz .LBB12_2
; %bb.1:
	v_mov_b32_e32 v1, 0
	flat_load_b64 v[2:3], v1, s[6:7]
.LBB12_2:
	s_mov_b32 s3, exec_lo
	s_wait_loadcnt_dscnt 0x0
	s_delay_alu instid0(VALU_DEP_1)
	v_cmpx_neq_f64_e32 0, v[2:3]
	s_cbranch_execz .LBB12_42
; %bb.3:
	s_bfe_u32 s3, ttmp6, 0x4000c
	s_and_b32 s6, ttmp6, 15
	s_add_co_i32 s3, s3, 1
	s_getreg_b32 s7, hwreg(HW_REG_IB_STS2, 6, 4)
	s_mul_i32 s3, ttmp9, s3
	v_mov_b32_e32 v9, 0
	s_add_co_i32 s6, s6, s3
	s_cmp_eq_u32 s7, 0
	v_mov_b64_e32 v[4:5], -1
	s_cselect_b32 s3, ttmp9, s6
	v_mov_b64_e32 v[6:7], 0
	v_lshl_or_b32 v8, s3, 8, v0
	s_mov_b32 s3, 0
	s_delay_alu instid0(VALU_DEP_1)
	v_cmp_gt_i64_e32 vcc_lo, s[4:5], v[8:9]
	s_and_saveexec_b32 s4, vcc_lo
	s_cbranch_execz .LBB12_5
; %bb.4:
	s_clause 0x1
	s_load_b128 s[8:11], s[0:1], 0x10
	s_load_b64 s[6:7], s[0:1], 0x20
	s_wait_kmcnt 0x0
	v_lshl_add_u64 v[4:5], v[8:9], 4, s[8:9]
	v_lshl_add_u64 v[8:9], v[8:9], 3, s[10:11]
	global_load_b128 v[4:7], v[4:5], off th:TH_LOAD_NT
	s_wait_loadcnt 0x0
	v_sub_nc_u64_e64 v[6:7], v[6:7], s[2:3]
	v_sub_nc_u64_e64 v[4:5], v[4:5], s[2:3]
	s_delay_alu instid0(VALU_DEP_2)
	v_lshl_add_u64 v[6:7], v[6:7], 3, s[6:7]
	global_load_b64 v[10:11], v[8:9], off th:TH_LOAD_NT
	global_load_b64 v[12:13], v[6:7], off
	s_wait_loadcnt 0x0
	v_mul_f64_e32 v[6:7], v[10:11], v[12:13]
.LBB12_5:
	s_or_b32 exec_lo, exec_lo, s4
	v_lshlrev_b32_e32 v1, 3, v0
	s_mov_b32 s2, exec_lo
	s_delay_alu instid0(VALU_DEP_1)
	v_or_b32_e32 v8, 0x800, v1
	ds_store_2addr_stride64_b64 v1, v[4:5], v[6:7] offset1:4
	s_wait_dscnt 0x0
	s_barrier_signal -1
	s_barrier_wait -1
	v_cmpx_ne_u32_e32 0, v0
	s_cbranch_execz .LBB12_9
; %bb.6:
	v_add_nc_u32_e32 v9, -8, v1
	s_mov_b32 s3, exec_lo
	ds_load_b64 v[10:11], v9
	s_wait_dscnt 0x0
	v_cmpx_eq_u64_e64 v[4:5], v[10:11]
	s_cbranch_execz .LBB12_8
; %bb.7:
	v_add_nc_u32_e32 v9, -8, v8
	ds_load_b64 v[10:11], v9
	s_wait_dscnt 0x0
	v_add_f64_e32 v[6:7], v[6:7], v[10:11]
.LBB12_8:
	s_or_b32 exec_lo, exec_lo, s3
.LBB12_9:
	s_delay_alu instid0(SALU_CYCLE_1) | instskip(NEXT) | instid1(SALU_CYCLE_1)
	s_or_b32 exec_lo, exec_lo, s2
	s_mov_b32 s2, exec_lo
	s_barrier_signal -1
	s_barrier_wait -1
	ds_store_b64 v8, v[6:7]
	s_wait_dscnt 0x0
	s_barrier_signal -1
	s_barrier_wait -1
	v_cmpx_lt_u32_e32 1, v0
	s_cbranch_execz .LBB12_13
; %bb.10:
	v_add_nc_u32_e32 v9, -16, v1
	s_mov_b32 s3, exec_lo
	ds_load_b64 v[10:11], v9
	s_wait_dscnt 0x0
	v_cmpx_eq_u64_e64 v[4:5], v[10:11]
	s_cbranch_execz .LBB12_12
; %bb.11:
	v_add_nc_u32_e32 v9, -16, v8
	ds_load_b64 v[10:11], v9
	s_wait_dscnt 0x0
	v_add_f64_e32 v[6:7], v[6:7], v[10:11]
.LBB12_12:
	s_or_b32 exec_lo, exec_lo, s3
.LBB12_13:
	s_delay_alu instid0(SALU_CYCLE_1) | instskip(NEXT) | instid1(SALU_CYCLE_1)
	s_or_b32 exec_lo, exec_lo, s2
	s_mov_b32 s2, exec_lo
	s_barrier_signal -1
	s_barrier_wait -1
	ds_store_b64 v8, v[6:7]
	s_wait_dscnt 0x0
	s_barrier_signal -1
	s_barrier_wait -1
	v_cmpx_lt_u32_e32 3, v0
	s_cbranch_execz .LBB12_17
; %bb.14:
	v_subrev_nc_u32_e32 v9, 32, v1
	s_mov_b32 s3, exec_lo
	ds_load_b64 v[10:11], v9
	s_wait_dscnt 0x0
	v_cmpx_eq_u64_e64 v[4:5], v[10:11]
	s_cbranch_execz .LBB12_16
; %bb.15:
	v_subrev_nc_u32_e32 v9, 32, v8
	ds_load_b64 v[10:11], v9
	s_wait_dscnt 0x0
	v_add_f64_e32 v[6:7], v[6:7], v[10:11]
.LBB12_16:
	s_or_b32 exec_lo, exec_lo, s3
.LBB12_17:
	s_delay_alu instid0(SALU_CYCLE_1) | instskip(NEXT) | instid1(SALU_CYCLE_1)
	s_or_b32 exec_lo, exec_lo, s2
	s_mov_b32 s2, exec_lo
	s_barrier_signal -1
	s_barrier_wait -1
	ds_store_b64 v8, v[6:7]
	s_wait_dscnt 0x0
	s_barrier_signal -1
	s_barrier_wait -1
	v_cmpx_lt_u32_e32 7, v0
	s_cbranch_execz .LBB12_21
; %bb.18:
	v_subrev_nc_u32_e32 v9, 64, v1
	s_mov_b32 s3, exec_lo
	ds_load_b64 v[10:11], v9
	s_wait_dscnt 0x0
	v_cmpx_eq_u64_e64 v[4:5], v[10:11]
	s_cbranch_execz .LBB12_20
; %bb.19:
	v_subrev_nc_u32_e32 v9, 64, v8
	ds_load_b64 v[10:11], v9
	s_wait_dscnt 0x0
	v_add_f64_e32 v[6:7], v[6:7], v[10:11]
.LBB12_20:
	s_or_b32 exec_lo, exec_lo, s3
.LBB12_21:
	s_delay_alu instid0(SALU_CYCLE_1) | instskip(NEXT) | instid1(SALU_CYCLE_1)
	s_or_b32 exec_lo, exec_lo, s2
	s_mov_b32 s2, exec_lo
	s_barrier_signal -1
	s_barrier_wait -1
	ds_store_b64 v8, v[6:7]
	s_wait_dscnt 0x0
	s_barrier_signal -1
	s_barrier_wait -1
	v_cmpx_lt_u32_e32 15, v0
	s_cbranch_execz .LBB12_25
; %bb.22:
	v_add_nc_u32_e32 v9, 0xffffff80, v1
	s_mov_b32 s3, exec_lo
	ds_load_b64 v[10:11], v9
	s_wait_dscnt 0x0
	v_cmpx_eq_u64_e64 v[4:5], v[10:11]
	s_cbranch_execz .LBB12_24
; %bb.23:
	v_add_nc_u32_e32 v9, 0xffffff80, v8
	ds_load_b64 v[10:11], v9
	s_wait_dscnt 0x0
	v_add_f64_e32 v[6:7], v[6:7], v[10:11]
.LBB12_24:
	s_or_b32 exec_lo, exec_lo, s3
.LBB12_25:
	s_delay_alu instid0(SALU_CYCLE_1) | instskip(NEXT) | instid1(SALU_CYCLE_1)
	s_or_b32 exec_lo, exec_lo, s2
	s_mov_b32 s2, exec_lo
	s_barrier_signal -1
	s_barrier_wait -1
	ds_store_b64 v8, v[6:7]
	s_wait_dscnt 0x0
	s_barrier_signal -1
	s_barrier_wait -1
	v_cmpx_lt_u32_e32 31, v0
	s_cbranch_execz .LBB12_29
; %bb.26:
	v_add_nc_u32_e32 v9, 0xffffff00, v1
	s_mov_b32 s3, exec_lo
	ds_load_b64 v[10:11], v9
	s_wait_dscnt 0x0
	v_cmpx_eq_u64_e64 v[4:5], v[10:11]
	s_cbranch_execz .LBB12_28
; %bb.27:
	v_add_nc_u32_e32 v9, 0xffffff00, v8
	ds_load_b64 v[10:11], v9
	s_wait_dscnt 0x0
	v_add_f64_e32 v[6:7], v[6:7], v[10:11]
.LBB12_28:
	s_or_b32 exec_lo, exec_lo, s3
.LBB12_29:
	;; [unrolled: 26-line block ×4, first 2 shown]
	s_delay_alu instid0(SALU_CYCLE_1)
	s_or_b32 exec_lo, exec_lo, s2
	s_load_b64 s[2:3], s[0:1], 0x28
	s_wait_xcnt 0x0
	s_mov_b32 s1, exec_lo
	s_barrier_signal -1
	s_barrier_wait -1
	ds_store_b64 v8, v[6:7]
	s_wait_dscnt 0x0
	s_barrier_signal -1
	s_barrier_wait -1
	v_cmpx_gt_u32_e32 0xff, v0
	s_cbranch_execz .LBB12_40
; %bb.38:
	ds_load_b64 v[8:9], v1 offset:8
	v_cmp_lt_i64_e64 s0, -1, v[4:5]
	s_wait_dscnt 0x0
	v_cmp_ne_u64_e32 vcc_lo, v[4:5], v[8:9]
	s_and_b32 s0, s0, vcc_lo
	s_delay_alu instid0(SALU_CYCLE_1)
	s_and_b32 exec_lo, exec_lo, s0
	s_cbranch_execz .LBB12_40
; %bb.39:
	v_mul_f64_e32 v[8:9], v[2:3], v[6:7]
	s_wait_kmcnt 0x0
	v_lshl_add_u64 v[10:11], v[4:5], 3, s[2:3]
	global_atomic_add_f64 v[10:11], v[8:9], off scope:SCOPE_DEV
.LBB12_40:
	s_wait_xcnt 0x0
	s_or_b32 exec_lo, exec_lo, s1
	v_cmp_lt_i64_e32 vcc_lo, -1, v[4:5]
	v_cmp_eq_u32_e64 s0, 0xff, v0
	s_and_b32 s0, s0, vcc_lo
	s_delay_alu instid0(SALU_CYCLE_1)
	s_and_b32 exec_lo, exec_lo, s0
	s_cbranch_execz .LBB12_42
; %bb.41:
	v_mul_f64_e32 v[0:1], v[2:3], v[6:7]
	s_wait_kmcnt 0x0
	v_lshl_add_u64 v[2:3], v[4:5], 3, s[2:3]
	global_atomic_add_f64 v[2:3], v[0:1], off scope:SCOPE_DEV
.LBB12_42:
	s_endpgm
	.section	.rodata,"a",@progbits
	.p2align	6, 0x0
	.amdhsa_kernel _ZN9rocsparseL23coomvn_aos_atomic_loopsILj256ELj1ElddddEEvlNS_24const_host_device_scalarIT5_EEPKT1_PKT2_PKT3_PT4_21rocsparse_index_base_b
		.amdhsa_group_segment_fixed_size 4096
		.amdhsa_private_segment_fixed_size 0
		.amdhsa_kernarg_size 56
		.amdhsa_user_sgpr_count 2
		.amdhsa_user_sgpr_dispatch_ptr 0
		.amdhsa_user_sgpr_queue_ptr 0
		.amdhsa_user_sgpr_kernarg_segment_ptr 1
		.amdhsa_user_sgpr_dispatch_id 0
		.amdhsa_user_sgpr_kernarg_preload_length 0
		.amdhsa_user_sgpr_kernarg_preload_offset 0
		.amdhsa_user_sgpr_private_segment_size 0
		.amdhsa_wavefront_size32 1
		.amdhsa_uses_dynamic_stack 0
		.amdhsa_enable_private_segment 0
		.amdhsa_system_sgpr_workgroup_id_x 1
		.amdhsa_system_sgpr_workgroup_id_y 0
		.amdhsa_system_sgpr_workgroup_id_z 0
		.amdhsa_system_sgpr_workgroup_info 0
		.amdhsa_system_vgpr_workitem_id 0
		.amdhsa_next_free_vgpr 14
		.amdhsa_next_free_sgpr 12
		.amdhsa_named_barrier_count 0
		.amdhsa_reserve_vcc 1
		.amdhsa_float_round_mode_32 0
		.amdhsa_float_round_mode_16_64 0
		.amdhsa_float_denorm_mode_32 3
		.amdhsa_float_denorm_mode_16_64 3
		.amdhsa_fp16_overflow 0
		.amdhsa_memory_ordered 1
		.amdhsa_forward_progress 1
		.amdhsa_inst_pref_size 11
		.amdhsa_round_robin_scheduling 0
		.amdhsa_exception_fp_ieee_invalid_op 0
		.amdhsa_exception_fp_denorm_src 0
		.amdhsa_exception_fp_ieee_div_zero 0
		.amdhsa_exception_fp_ieee_overflow 0
		.amdhsa_exception_fp_ieee_underflow 0
		.amdhsa_exception_fp_ieee_inexact 0
		.amdhsa_exception_int_div_zero 0
	.end_amdhsa_kernel
	.section	.text._ZN9rocsparseL23coomvn_aos_atomic_loopsILj256ELj1ElddddEEvlNS_24const_host_device_scalarIT5_EEPKT1_PKT2_PKT3_PT4_21rocsparse_index_base_b,"axG",@progbits,_ZN9rocsparseL23coomvn_aos_atomic_loopsILj256ELj1ElddddEEvlNS_24const_host_device_scalarIT5_EEPKT1_PKT2_PKT3_PT4_21rocsparse_index_base_b,comdat
.Lfunc_end12:
	.size	_ZN9rocsparseL23coomvn_aos_atomic_loopsILj256ELj1ElddddEEvlNS_24const_host_device_scalarIT5_EEPKT1_PKT2_PKT3_PT4_21rocsparse_index_base_b, .Lfunc_end12-_ZN9rocsparseL23coomvn_aos_atomic_loopsILj256ELj1ElddddEEvlNS_24const_host_device_scalarIT5_EEPKT1_PKT2_PKT3_PT4_21rocsparse_index_base_b
                                        ; -- End function
	.set _ZN9rocsparseL23coomvn_aos_atomic_loopsILj256ELj1ElddddEEvlNS_24const_host_device_scalarIT5_EEPKT1_PKT2_PKT3_PT4_21rocsparse_index_base_b.num_vgpr, 14
	.set _ZN9rocsparseL23coomvn_aos_atomic_loopsILj256ELj1ElddddEEvlNS_24const_host_device_scalarIT5_EEPKT1_PKT2_PKT3_PT4_21rocsparse_index_base_b.num_agpr, 0
	.set _ZN9rocsparseL23coomvn_aos_atomic_loopsILj256ELj1ElddddEEvlNS_24const_host_device_scalarIT5_EEPKT1_PKT2_PKT3_PT4_21rocsparse_index_base_b.numbered_sgpr, 12
	.set _ZN9rocsparseL23coomvn_aos_atomic_loopsILj256ELj1ElddddEEvlNS_24const_host_device_scalarIT5_EEPKT1_PKT2_PKT3_PT4_21rocsparse_index_base_b.num_named_barrier, 0
	.set _ZN9rocsparseL23coomvn_aos_atomic_loopsILj256ELj1ElddddEEvlNS_24const_host_device_scalarIT5_EEPKT1_PKT2_PKT3_PT4_21rocsparse_index_base_b.private_seg_size, 0
	.set _ZN9rocsparseL23coomvn_aos_atomic_loopsILj256ELj1ElddddEEvlNS_24const_host_device_scalarIT5_EEPKT1_PKT2_PKT3_PT4_21rocsparse_index_base_b.uses_vcc, 1
	.set _ZN9rocsparseL23coomvn_aos_atomic_loopsILj256ELj1ElddddEEvlNS_24const_host_device_scalarIT5_EEPKT1_PKT2_PKT3_PT4_21rocsparse_index_base_b.uses_flat_scratch, 0
	.set _ZN9rocsparseL23coomvn_aos_atomic_loopsILj256ELj1ElddddEEvlNS_24const_host_device_scalarIT5_EEPKT1_PKT2_PKT3_PT4_21rocsparse_index_base_b.has_dyn_sized_stack, 0
	.set _ZN9rocsparseL23coomvn_aos_atomic_loopsILj256ELj1ElddddEEvlNS_24const_host_device_scalarIT5_EEPKT1_PKT2_PKT3_PT4_21rocsparse_index_base_b.has_recursion, 0
	.set _ZN9rocsparseL23coomvn_aos_atomic_loopsILj256ELj1ElddddEEvlNS_24const_host_device_scalarIT5_EEPKT1_PKT2_PKT3_PT4_21rocsparse_index_base_b.has_indirect_call, 0
	.section	.AMDGPU.csdata,"",@progbits
; Kernel info:
; codeLenInByte = 1352
; TotalNumSgprs: 14
; NumVgprs: 14
; ScratchSize: 0
; MemoryBound: 1
; FloatMode: 240
; IeeeMode: 1
; LDSByteSize: 4096 bytes/workgroup (compile time only)
; SGPRBlocks: 0
; VGPRBlocks: 0
; NumSGPRsForWavesPerEU: 14
; NumVGPRsForWavesPerEU: 14
; NamedBarCnt: 0
; Occupancy: 16
; WaveLimiterHint : 1
; COMPUTE_PGM_RSRC2:SCRATCH_EN: 0
; COMPUTE_PGM_RSRC2:USER_SGPR: 2
; COMPUTE_PGM_RSRC2:TRAP_HANDLER: 0
; COMPUTE_PGM_RSRC2:TGID_X_EN: 1
; COMPUTE_PGM_RSRC2:TGID_Y_EN: 0
; COMPUTE_PGM_RSRC2:TGID_Z_EN: 0
; COMPUTE_PGM_RSRC2:TIDIG_COMP_CNT: 0
	.section	.text._ZN9rocsparseL17coomvt_aos_kernelILj1024ElddddEEv20rocsparse_operation_lNS_24const_host_device_scalarIT4_EEPKT0_PKT1_PKT2_PT3_21rocsparse_index_base_b,"axG",@progbits,_ZN9rocsparseL17coomvt_aos_kernelILj1024ElddddEEv20rocsparse_operation_lNS_24const_host_device_scalarIT4_EEPKT0_PKT1_PKT2_PT3_21rocsparse_index_base_b,comdat
	.globl	_ZN9rocsparseL17coomvt_aos_kernelILj1024ElddddEEv20rocsparse_operation_lNS_24const_host_device_scalarIT4_EEPKT0_PKT1_PKT2_PT3_21rocsparse_index_base_b ; -- Begin function _ZN9rocsparseL17coomvt_aos_kernelILj1024ElddddEEv20rocsparse_operation_lNS_24const_host_device_scalarIT4_EEPKT0_PKT1_PKT2_PT3_21rocsparse_index_base_b
	.p2align	8
	.type	_ZN9rocsparseL17coomvt_aos_kernelILj1024ElddddEEv20rocsparse_operation_lNS_24const_host_device_scalarIT4_EEPKT0_PKT1_PKT2_PT3_21rocsparse_index_base_b,@function
_ZN9rocsparseL17coomvt_aos_kernelILj1024ElddddEEv20rocsparse_operation_lNS_24const_host_device_scalarIT4_EEPKT0_PKT1_PKT2_PT3_21rocsparse_index_base_b: ; @_ZN9rocsparseL17coomvt_aos_kernelILj1024ElddddEEv20rocsparse_operation_lNS_24const_host_device_scalarIT4_EEPKT0_PKT1_PKT2_PT3_21rocsparse_index_base_b
; %bb.0:
	s_clause 0x1
	s_load_b64 s[2:3], s[0:1], 0x38
	s_load_b128 s[4:7], s[0:1], 0x8
	s_wait_kmcnt 0x0
	s_bitcmp1_b32 s3, 0
	v_mov_b64_e32 v[2:3], s[6:7]
	s_cselect_b32 s3, -1, 0
	s_delay_alu instid0(SALU_CYCLE_1)
	s_and_b32 vcc_lo, exec_lo, s3
	s_cbranch_vccnz .LBB13_2
; %bb.1:
	v_mov_b32_e32 v1, 0
	flat_load_b64 v[2:3], v1, s[6:7]
.LBB13_2:
	s_mov_b32 s3, exec_lo
	s_wait_loadcnt_dscnt 0x0
	s_delay_alu instid0(VALU_DEP_1)
	v_cmpx_neq_f64_e32 0, v[2:3]
	s_cbranch_execz .LBB13_5
; %bb.3:
	s_load_b32 s3, s[0:1], 0x4c
	s_bfe_u32 s6, ttmp6, 0x4000c
	s_and_b32 s7, ttmp6, 15
	s_add_co_i32 s6, s6, 1
	s_getreg_b32 s8, hwreg(HW_REG_IB_STS2, 6, 4)
	s_mul_i32 s6, ttmp9, s6
	v_mov_b32_e32 v1, 0
	s_add_co_i32 s7, s7, s6
	s_wait_kmcnt 0x0
	s_and_b32 s3, s3, 0xffff
	s_cmp_eq_u32 s8, 0
	s_cselect_b32 s6, ttmp9, s7
	s_delay_alu instid0(SALU_CYCLE_1) | instskip(SKIP_1) | instid1(VALU_DEP_1)
	v_mad_u32 v0, s6, s3, v0
	s_mov_b32 s3, 0
	v_cmp_gt_i64_e32 vcc_lo, s[4:5], v[0:1]
	s_and_b32 exec_lo, exec_lo, vcc_lo
	s_cbranch_execz .LBB13_5
; %bb.4:
	s_load_b256 s[4:11], s[0:1], 0x18
	s_wait_kmcnt 0x0
	v_lshl_add_u64 v[4:5], v[0:1], 4, s[4:5]
	v_lshl_add_u64 v[0:1], v[0:1], 3, s[6:7]
	global_load_b128 v[4:7], v[4:5], off
	global_load_b64 v[0:1], v[0:1], off
	s_wait_loadcnt 0x1
	s_wait_xcnt 0x1
	v_sub_nc_u64_e64 v[4:5], v[4:5], s[2:3]
	s_wait_loadcnt 0x0
	v_mul_f64_e32 v[0:1], v[2:3], v[0:1]
	v_sub_nc_u64_e64 v[2:3], v[6:7], s[2:3]
	s_delay_alu instid0(VALU_DEP_3) | instskip(NEXT) | instid1(VALU_DEP_2)
	v_lshl_add_u64 v[4:5], v[4:5], 3, s[8:9]
	v_lshl_add_u64 v[2:3], v[2:3], 3, s[10:11]
	global_load_b64 v[4:5], v[4:5], off
	s_wait_loadcnt 0x0
	v_mul_f64_e32 v[0:1], v[0:1], v[4:5]
	global_atomic_add_f64 v[2:3], v[0:1], off scope:SCOPE_DEV
.LBB13_5:
	s_endpgm
	.section	.rodata,"a",@progbits
	.p2align	6, 0x0
	.amdhsa_kernel _ZN9rocsparseL17coomvt_aos_kernelILj1024ElddddEEv20rocsparse_operation_lNS_24const_host_device_scalarIT4_EEPKT0_PKT1_PKT2_PT3_21rocsparse_index_base_b
		.amdhsa_group_segment_fixed_size 0
		.amdhsa_private_segment_fixed_size 0
		.amdhsa_kernarg_size 320
		.amdhsa_user_sgpr_count 2
		.amdhsa_user_sgpr_dispatch_ptr 0
		.amdhsa_user_sgpr_queue_ptr 0
		.amdhsa_user_sgpr_kernarg_segment_ptr 1
		.amdhsa_user_sgpr_dispatch_id 0
		.amdhsa_user_sgpr_kernarg_preload_length 0
		.amdhsa_user_sgpr_kernarg_preload_offset 0
		.amdhsa_user_sgpr_private_segment_size 0
		.amdhsa_wavefront_size32 1
		.amdhsa_uses_dynamic_stack 0
		.amdhsa_enable_private_segment 0
		.amdhsa_system_sgpr_workgroup_id_x 1
		.amdhsa_system_sgpr_workgroup_id_y 0
		.amdhsa_system_sgpr_workgroup_id_z 0
		.amdhsa_system_sgpr_workgroup_info 0
		.amdhsa_system_vgpr_workitem_id 0
		.amdhsa_next_free_vgpr 8
		.amdhsa_next_free_sgpr 12
		.amdhsa_named_barrier_count 0
		.amdhsa_reserve_vcc 1
		.amdhsa_float_round_mode_32 0
		.amdhsa_float_round_mode_16_64 0
		.amdhsa_float_denorm_mode_32 3
		.amdhsa_float_denorm_mode_16_64 3
		.amdhsa_fp16_overflow 0
		.amdhsa_memory_ordered 1
		.amdhsa_forward_progress 1
		.amdhsa_inst_pref_size 3
		.amdhsa_round_robin_scheduling 0
		.amdhsa_exception_fp_ieee_invalid_op 0
		.amdhsa_exception_fp_denorm_src 0
		.amdhsa_exception_fp_ieee_div_zero 0
		.amdhsa_exception_fp_ieee_overflow 0
		.amdhsa_exception_fp_ieee_underflow 0
		.amdhsa_exception_fp_ieee_inexact 0
		.amdhsa_exception_int_div_zero 0
	.end_amdhsa_kernel
	.section	.text._ZN9rocsparseL17coomvt_aos_kernelILj1024ElddddEEv20rocsparse_operation_lNS_24const_host_device_scalarIT4_EEPKT0_PKT1_PKT2_PT3_21rocsparse_index_base_b,"axG",@progbits,_ZN9rocsparseL17coomvt_aos_kernelILj1024ElddddEEv20rocsparse_operation_lNS_24const_host_device_scalarIT4_EEPKT0_PKT1_PKT2_PT3_21rocsparse_index_base_b,comdat
.Lfunc_end13:
	.size	_ZN9rocsparseL17coomvt_aos_kernelILj1024ElddddEEv20rocsparse_operation_lNS_24const_host_device_scalarIT4_EEPKT0_PKT1_PKT2_PT3_21rocsparse_index_base_b, .Lfunc_end13-_ZN9rocsparseL17coomvt_aos_kernelILj1024ElddddEEv20rocsparse_operation_lNS_24const_host_device_scalarIT4_EEPKT0_PKT1_PKT2_PT3_21rocsparse_index_base_b
                                        ; -- End function
	.set _ZN9rocsparseL17coomvt_aos_kernelILj1024ElddddEEv20rocsparse_operation_lNS_24const_host_device_scalarIT4_EEPKT0_PKT1_PKT2_PT3_21rocsparse_index_base_b.num_vgpr, 8
	.set _ZN9rocsparseL17coomvt_aos_kernelILj1024ElddddEEv20rocsparse_operation_lNS_24const_host_device_scalarIT4_EEPKT0_PKT1_PKT2_PT3_21rocsparse_index_base_b.num_agpr, 0
	.set _ZN9rocsparseL17coomvt_aos_kernelILj1024ElddddEEv20rocsparse_operation_lNS_24const_host_device_scalarIT4_EEPKT0_PKT1_PKT2_PT3_21rocsparse_index_base_b.numbered_sgpr, 12
	.set _ZN9rocsparseL17coomvt_aos_kernelILj1024ElddddEEv20rocsparse_operation_lNS_24const_host_device_scalarIT4_EEPKT0_PKT1_PKT2_PT3_21rocsparse_index_base_b.num_named_barrier, 0
	.set _ZN9rocsparseL17coomvt_aos_kernelILj1024ElddddEEv20rocsparse_operation_lNS_24const_host_device_scalarIT4_EEPKT0_PKT1_PKT2_PT3_21rocsparse_index_base_b.private_seg_size, 0
	.set _ZN9rocsparseL17coomvt_aos_kernelILj1024ElddddEEv20rocsparse_operation_lNS_24const_host_device_scalarIT4_EEPKT0_PKT1_PKT2_PT3_21rocsparse_index_base_b.uses_vcc, 1
	.set _ZN9rocsparseL17coomvt_aos_kernelILj1024ElddddEEv20rocsparse_operation_lNS_24const_host_device_scalarIT4_EEPKT0_PKT1_PKT2_PT3_21rocsparse_index_base_b.uses_flat_scratch, 0
	.set _ZN9rocsparseL17coomvt_aos_kernelILj1024ElddddEEv20rocsparse_operation_lNS_24const_host_device_scalarIT4_EEPKT0_PKT1_PKT2_PT3_21rocsparse_index_base_b.has_dyn_sized_stack, 0
	.set _ZN9rocsparseL17coomvt_aos_kernelILj1024ElddddEEv20rocsparse_operation_lNS_24const_host_device_scalarIT4_EEPKT0_PKT1_PKT2_PT3_21rocsparse_index_base_b.has_recursion, 0
	.set _ZN9rocsparseL17coomvt_aos_kernelILj1024ElddddEEv20rocsparse_operation_lNS_24const_host_device_scalarIT4_EEPKT0_PKT1_PKT2_PT3_21rocsparse_index_base_b.has_indirect_call, 0
	.section	.AMDGPU.csdata,"",@progbits
; Kernel info:
; codeLenInByte = 312
; TotalNumSgprs: 14
; NumVgprs: 8
; ScratchSize: 0
; MemoryBound: 0
; FloatMode: 240
; IeeeMode: 1
; LDSByteSize: 0 bytes/workgroup (compile time only)
; SGPRBlocks: 0
; VGPRBlocks: 0
; NumSGPRsForWavesPerEU: 14
; NumVGPRsForWavesPerEU: 8
; NamedBarCnt: 0
; Occupancy: 16
; WaveLimiterHint : 1
; COMPUTE_PGM_RSRC2:SCRATCH_EN: 0
; COMPUTE_PGM_RSRC2:USER_SGPR: 2
; COMPUTE_PGM_RSRC2:TRAP_HANDLER: 0
; COMPUTE_PGM_RSRC2:TGID_X_EN: 1
; COMPUTE_PGM_RSRC2:TGID_Y_EN: 0
; COMPUTE_PGM_RSRC2:TGID_Z_EN: 0
; COMPUTE_PGM_RSRC2:TIDIG_COMP_CNT: 0
	.section	.text._ZN9rocsparseL26coomvn_aos_segmented_loopsILj256ElddddEEvlT0_NS_24const_host_device_scalarIT4_EEPKS1_PKT1_PKT2_PT3_PS1_PS3_21rocsparse_index_base_b,"axG",@progbits,_ZN9rocsparseL26coomvn_aos_segmented_loopsILj256ElddddEEvlT0_NS_24const_host_device_scalarIT4_EEPKS1_PKT1_PKT2_PT3_PS1_PS3_21rocsparse_index_base_b,comdat
	.globl	_ZN9rocsparseL26coomvn_aos_segmented_loopsILj256ElddddEEvlT0_NS_24const_host_device_scalarIT4_EEPKS1_PKT1_PKT2_PT3_PS1_PS3_21rocsparse_index_base_b ; -- Begin function _ZN9rocsparseL26coomvn_aos_segmented_loopsILj256ElddddEEvlT0_NS_24const_host_device_scalarIT4_EEPKS1_PKT1_PKT2_PT3_PS1_PS3_21rocsparse_index_base_b
	.p2align	8
	.type	_ZN9rocsparseL26coomvn_aos_segmented_loopsILj256ElddddEEvlT0_NS_24const_host_device_scalarIT4_EEPKS1_PKT1_PKT2_PT3_PS1_PS3_21rocsparse_index_base_b,@function
_ZN9rocsparseL26coomvn_aos_segmented_loopsILj256ElddddEEvlT0_NS_24const_host_device_scalarIT4_EEPKS1_PKT1_PKT2_PT3_PS1_PS3_21rocsparse_index_base_b: ; @_ZN9rocsparseL26coomvn_aos_segmented_loopsILj256ElddddEEvlT0_NS_24const_host_device_scalarIT4_EEPKS1_PKT1_PKT2_PT3_PS1_PS3_21rocsparse_index_base_b
; %bb.0:
	s_clause 0x1
	s_load_b64 s[14:15], s[0:1], 0x48
	s_load_b64 s[2:3], s[0:1], 0x10
	s_wait_kmcnt 0x0
	s_bitcmp1_b32 s15, 0
	v_mov_b64_e32 v[2:3], s[2:3]
	s_cselect_b32 s4, -1, 0
	s_delay_alu instid0(SALU_CYCLE_1)
	s_and_b32 vcc_lo, exec_lo, s4
	s_cbranch_vccnz .LBB14_2
; %bb.1:
	v_mov_b32_e32 v1, 0
	flat_load_b64 v[2:3], v1, s[2:3]
.LBB14_2:
	s_wait_xcnt 0x0
	s_mov_b32 s2, exec_lo
	s_wait_loadcnt_dscnt 0x0
	v_cmpx_neq_f64_e32 0, v[2:3]
	s_cbranch_execz .LBB14_89
; %bb.3:
	s_clause 0x1
	s_load_b128 s[16:19], s[0:1], 0x0
	s_load_b64 s[28:29], s[0:1], 0x28
	s_bfe_u32 s2, ttmp6, 0x4000c
	s_load_b128 s[20:23], s[0:1], 0x18
	s_add_co_i32 s2, s2, 1
	s_and_b32 s3, ttmp6, 15
	s_mul_i32 s2, ttmp9, s2
	s_getreg_b32 s4, hwreg(HW_REG_IB_STS2, 6, 4)
	s_add_co_i32 s3, s3, s2
	s_cmp_eq_u32 s4, 0
	s_mov_b32 s25, 0
	s_cselect_b32 s24, ttmp9, s3
	v_mov_b64_e32 v[8:9], 0
	v_mov_b64_e32 v[6:7], -1
	s_wait_kmcnt 0x0
	s_mul_u64 s[30:31], s[24:25], s[18:19]
	s_delay_alu instid0(SALU_CYCLE_1) | instskip(NEXT) | instid1(SALU_CYCLE_1)
	s_lshl_b64 s[2:3], s[30:31], 8
	v_dual_mov_b32 v11, s3 :: v_dual_bitop2_b32 v10, s2, v0 bitop3:0x54
	s_mov_b32 s2, exec_lo
	s_delay_alu instid0(VALU_DEP_1)
	v_cmpx_gt_i64_e64 s[16:17], v[10:11]
	s_cbranch_execz .LBB14_5
; %bb.4:
	v_lshl_add_u64 v[4:5], v[10:11], 4, s[20:21]
	s_mov_b32 s15, s25
	global_load_b128 v[6:9], v[4:5], off th:TH_LOAD_NT
	s_wait_loadcnt 0x0
	v_lshl_add_u64 v[4:5], v[8:9], 3, s[28:29]
	v_sub_nc_u64_e64 v[6:7], v[6:7], s[14:15]
	s_ashr_i32 s15, s14, 31
	v_lshl_add_u64 v[8:9], v[10:11], 3, s[22:23]
	s_lshl_b64 s[4:5], s[14:15], 3
	s_delay_alu instid0(SALU_CYCLE_1)
	v_sub_nc_u64_e64 v[4:5], v[4:5], s[4:5]
	global_load_b64 v[12:13], v[8:9], off th:TH_LOAD_NT
	global_load_b64 v[14:15], v[4:5], off
	s_wait_loadcnt 0x0
	v_mul_f64_e32 v[8:9], v[12:13], v[14:15]
.LBB14_5:
	s_or_b32 exec_lo, exec_lo, s2
	v_lshlrev_b32_e32 v4, 3, v0
	v_cmp_eq_u32_e64 s2, 0, v0
	v_cmp_ne_u32_e64 s3, 0, v0
	s_delay_alu instid0(VALU_DEP_3)
	v_or_b32_e32 v1, 0x800, v4
	v_add_nc_u32_e32 v18, -8, v4
	ds_store_2addr_stride64_b64 v4, v[6:7], v[8:9] offset1:4
	s_wait_dscnt 0x0
	s_barrier_signal -1
	s_barrier_wait -1
	s_and_saveexec_b32 s4, s3
	s_cbranch_execz .LBB14_9
; %bb.6:
	ds_load_b64 v[12:13], v18
	s_mov_b32 s5, exec_lo
	s_wait_dscnt 0x0
	v_cmpx_eq_u64_e64 v[6:7], v[12:13]
	s_cbranch_execz .LBB14_8
; %bb.7:
	v_add_nc_u32_e32 v5, -8, v1
	ds_load_b64 v[12:13], v5
	s_wait_dscnt 0x0
	v_add_f64_e32 v[8:9], v[8:9], v[12:13]
.LBB14_8:
	s_or_b32 exec_lo, exec_lo, s5
.LBB14_9:
	s_delay_alu instid0(SALU_CYCLE_1)
	s_or_b32 exec_lo, exec_lo, s4
	v_cmp_lt_u32_e64 s4, 1, v0
	v_add_nc_u32_e32 v19, -16, v4
	s_barrier_signal -1
	s_barrier_wait -1
	ds_store_b64 v1, v[8:9]
	s_wait_dscnt 0x0
	s_barrier_signal -1
	s_barrier_wait -1
	s_and_saveexec_b32 s5, s4
	s_cbranch_execz .LBB14_13
; %bb.10:
	ds_load_b64 v[12:13], v19
	s_mov_b32 s6, exec_lo
	s_wait_dscnt 0x0
	v_cmpx_eq_u64_e64 v[6:7], v[12:13]
	s_cbranch_execz .LBB14_12
; %bb.11:
	v_add_nc_u32_e32 v5, -16, v1
	ds_load_b64 v[12:13], v5
	s_wait_dscnt 0x0
	v_add_f64_e32 v[8:9], v[8:9], v[12:13]
.LBB14_12:
	s_or_b32 exec_lo, exec_lo, s6
.LBB14_13:
	s_delay_alu instid0(SALU_CYCLE_1)
	s_or_b32 exec_lo, exec_lo, s5
	v_cmp_lt_u32_e64 s5, 3, v0
	v_subrev_nc_u32_e32 v20, 32, v4
	s_barrier_signal -1
	s_barrier_wait -1
	ds_store_b64 v1, v[8:9]
	s_wait_dscnt 0x0
	s_barrier_signal -1
	s_barrier_wait -1
	s_and_saveexec_b32 s6, s5
	s_cbranch_execz .LBB14_17
; %bb.14:
	ds_load_b64 v[12:13], v20
	s_mov_b32 s7, exec_lo
	s_wait_dscnt 0x0
	v_cmpx_eq_u64_e64 v[6:7], v[12:13]
	s_cbranch_execz .LBB14_16
; %bb.15:
	v_subrev_nc_u32_e32 v5, 32, v1
	ds_load_b64 v[12:13], v5
	s_wait_dscnt 0x0
	v_add_f64_e32 v[8:9], v[8:9], v[12:13]
.LBB14_16:
	s_or_b32 exec_lo, exec_lo, s7
.LBB14_17:
	s_delay_alu instid0(SALU_CYCLE_1)
	s_or_b32 exec_lo, exec_lo, s6
	v_cmp_lt_u32_e64 s6, 7, v0
	v_subrev_nc_u32_e32 v21, 64, v4
	s_barrier_signal -1
	s_barrier_wait -1
	ds_store_b64 v1, v[8:9]
	s_wait_dscnt 0x0
	s_barrier_signal -1
	s_barrier_wait -1
	s_and_saveexec_b32 s7, s6
	s_cbranch_execz .LBB14_21
; %bb.18:
	ds_load_b64 v[12:13], v21
	s_mov_b32 s8, exec_lo
	s_wait_dscnt 0x0
	v_cmpx_eq_u64_e64 v[6:7], v[12:13]
	s_cbranch_execz .LBB14_20
; %bb.19:
	v_subrev_nc_u32_e32 v5, 64, v1
	ds_load_b64 v[12:13], v5
	s_wait_dscnt 0x0
	v_add_f64_e32 v[8:9], v[8:9], v[12:13]
.LBB14_20:
	s_or_b32 exec_lo, exec_lo, s8
.LBB14_21:
	s_delay_alu instid0(SALU_CYCLE_1)
	s_or_b32 exec_lo, exec_lo, s7
	v_cmp_lt_u32_e64 s7, 15, v0
	v_add_nc_u32_e32 v22, 0xffffff80, v4
	s_barrier_signal -1
	s_barrier_wait -1
	ds_store_b64 v1, v[8:9]
	s_wait_dscnt 0x0
	s_barrier_signal -1
	s_barrier_wait -1
	s_and_saveexec_b32 s8, s7
	s_cbranch_execz .LBB14_25
; %bb.22:
	ds_load_b64 v[12:13], v22
	s_mov_b32 s9, exec_lo
	s_wait_dscnt 0x0
	v_cmpx_eq_u64_e64 v[6:7], v[12:13]
	s_cbranch_execz .LBB14_24
; %bb.23:
	v_add_nc_u32_e32 v5, 0xffffff80, v1
	ds_load_b64 v[12:13], v5
	s_wait_dscnt 0x0
	v_add_f64_e32 v[8:9], v[8:9], v[12:13]
.LBB14_24:
	s_or_b32 exec_lo, exec_lo, s9
.LBB14_25:
	s_delay_alu instid0(SALU_CYCLE_1)
	s_or_b32 exec_lo, exec_lo, s8
	v_cmp_lt_u32_e64 s8, 31, v0
	v_add_nc_u32_e32 v23, 0xffffff00, v4
	s_barrier_signal -1
	s_barrier_wait -1
	ds_store_b64 v1, v[8:9]
	s_wait_dscnt 0x0
	s_barrier_signal -1
	s_barrier_wait -1
	s_and_saveexec_b32 s9, s8
	s_cbranch_execz .LBB14_29
; %bb.26:
	ds_load_b64 v[12:13], v23
	s_mov_b32 s10, exec_lo
	s_wait_dscnt 0x0
	v_cmpx_eq_u64_e64 v[6:7], v[12:13]
	s_cbranch_execz .LBB14_28
; %bb.27:
	v_add_nc_u32_e32 v5, 0xffffff00, v1
	ds_load_b64 v[12:13], v5
	s_wait_dscnt 0x0
	v_add_f64_e32 v[8:9], v[8:9], v[12:13]
.LBB14_28:
	s_or_b32 exec_lo, exec_lo, s10
.LBB14_29:
	;; [unrolled: 26-line block ×4, first 2 shown]
	s_delay_alu instid0(SALU_CYCLE_1)
	s_or_b32 exec_lo, exec_lo, s11
	s_load_b64 s[26:27], s[0:1], 0x30
	v_cmp_gt_u32_e64 s11, 0xff, v0
	s_barrier_signal -1
	s_barrier_wait -1
	ds_store_b64 v1, v[8:9]
	s_wait_dscnt 0x0
	s_barrier_signal -1
	s_barrier_wait -1
	s_and_saveexec_b32 s13, s11
	s_cbranch_execz .LBB14_40
; %bb.38:
	ds_load_b64 v[12:13], v4 offset:8
	v_cmp_lt_i64_e64 s12, -1, v[6:7]
	s_wait_dscnt 0x0
	v_cmp_ne_u64_e32 vcc_lo, v[6:7], v[12:13]
	s_and_b32 s12, s12, vcc_lo
	s_delay_alu instid0(SALU_CYCLE_1)
	s_and_b32 exec_lo, exec_lo, s12
	s_cbranch_execz .LBB14_40
; %bb.39:
	s_wait_kmcnt 0x0
	v_lshl_add_u64 v[12:13], v[6:7], 3, s[26:27]
	global_load_b64 v[14:15], v[12:13], off
	s_wait_loadcnt 0x0
	v_fmac_f64_e32 v[14:15], v[2:3], v[8:9]
	global_store_b64 v[12:13], v[14:15], off
.LBB14_40:
	s_wait_xcnt 0x0
	s_or_b32 exec_lo, exec_lo, s13
	v_cmp_lt_i64_e64 s12, s[18:19], 2
	s_and_b32 vcc_lo, exec_lo, s12
	s_cbranch_vccnz .LBB14_87
; %bb.41:
	v_dual_mov_b32 v5, 0 :: v_dual_add_nc_u32 v26, -8, v1
	v_lshlrev_b32_e32 v6, 4, v0
	s_lshl_b64 s[34:35], s[30:31], 11
	s_lshl_b64 s[30:31], s[30:31], 12
	s_delay_alu instid0(VALU_DEP_2)
	v_mov_b32_e32 v7, v5
	s_add_nc_u64 s[22:23], s[22:23], s[34:35]
	s_add_nc_u64 s[20:21], s[20:21], s[30:31]
	v_add_nc_u64_e32 v[8:9], s[22:23], v[4:5]
	v_add_nc_u64_e32 v[10:11], 0x100, v[10:11]
	;; [unrolled: 1-line block ×3, first 2 shown]
	s_ashr_i32 s13, s14, 31
	s_mov_b32 s12, s14
	v_add_nc_u32_e32 v27, -16, v1
	v_subrev_nc_u32_e32 v28, 32, v1
	v_add_nc_u64_e32 v[12:13], 0x800, v[8:9]
	v_subrev_nc_u32_e32 v29, 64, v1
	v_add_nc_u64_e32 v[14:15], 0x1000, v[6:7]
	v_add_nc_u32_e32 v30, 0xffffff80, v1
	v_add_nc_u32_e32 v31, 0xffffff00, v1
	;; [unrolled: 1-line block ×4, first 2 shown]
	s_lshl_b64 s[12:13], s[12:13], 3
	s_add_nc_u64 s[18:19], s[18:19], -1
	s_mov_b32 s15, 0
	s_sub_nc_u64 s[20:21], s[28:29], s[12:13]
	s_mov_b64 s[22:23], 0
	s_branch .LBB14_43
.LBB14_42:                              ;   in Loop: Header=BB14_43 Depth=1
	s_wait_xcnt 0x0
	s_or_b32 exec_lo, exec_lo, s13
	s_add_nc_u64 s[22:23], s[22:23], 1
	v_add_nc_u64_e32 v[12:13], 0x800, v[12:13]
	v_cmp_le_u64_e64 s12, s[18:19], s[22:23]
	v_add_nc_u64_e32 v[14:15], 0x1000, v[14:15]
	v_add_nc_u64_e32 v[10:11], 0x100, v[10:11]
	s_and_b32 vcc_lo, exec_lo, s12
	s_cbranch_vccnz .LBB14_87
.LBB14_43:                              ; =>This Inner Loop Header: Depth=1
	v_mov_b64_e32 v[8:9], 0
	v_mov_b64_e32 v[6:7], -1
	s_mov_b32 s12, exec_lo
	s_delay_alu instid0(VALU_DEP_3)
	v_cmpx_gt_i64_e64 s[16:17], v[10:11]
	s_cbranch_execz .LBB14_45
; %bb.44:                               ;   in Loop: Header=BB14_43 Depth=1
	global_load_b128 v[6:9], v[14:15], off th:TH_LOAD_NT
	s_wait_loadcnt 0x0
	v_lshl_add_u64 v[8:9], v[8:9], 3, s[20:21]
	v_sub_nc_u64_e64 v[6:7], v[6:7], s[14:15]
	global_load_b64 v[16:17], v[12:13], off th:TH_LOAD_NT
	global_load_b64 v[34:35], v[8:9], off
	s_wait_loadcnt 0x0
	v_mul_f64_e32 v[8:9], v[16:17], v[34:35]
.LBB14_45:                              ;   in Loop: Header=BB14_43 Depth=1
	s_or_b32 exec_lo, exec_lo, s12
	s_and_saveexec_b32 s12, s2
	s_cbranch_execz .LBB14_52
; %bb.46:                               ;   in Loop: Header=BB14_43 Depth=1
	ds_load_b64 v[16:17], v5 offset:2040
	s_mov_b32 s13, exec_lo
	s_wait_dscnt 0x0
	v_cmpx_ne_u64_e64 v[6:7], v[16:17]
	s_xor_b32 s13, exec_lo, s13
	s_cbranch_execz .LBB14_49
; %bb.47:                               ;   in Loop: Header=BB14_43 Depth=1
	v_cmp_gt_i64_e32 vcc_lo, 0, v[16:17]
	s_cbranch_vccnz .LBB14_49
; %bb.48:                               ;   in Loop: Header=BB14_43 Depth=1
	v_lshlrev_b64_e32 v[16:17], 3, v[16:17]
	ds_load_b64 v[36:37], v5 offset:4088
	s_wait_kmcnt 0x0
	v_add_nc_u64_e32 v[16:17], s[26:27], v[16:17]
	global_load_b64 v[34:35], v[16:17], off
	s_wait_loadcnt_dscnt 0x0
	v_fmac_f64_e32 v[34:35], v[2:3], v[36:37]
	global_store_b64 v[16:17], v[34:35], off
.LBB14_49:                              ;   in Loop: Header=BB14_43 Depth=1
	s_wait_xcnt 0x0
	s_and_not1_saveexec_b32 s13, s13
	s_cbranch_execz .LBB14_51
; %bb.50:                               ;   in Loop: Header=BB14_43 Depth=1
	ds_load_b64 v[16:17], v5 offset:4088
	s_wait_dscnt 0x0
	v_add_f64_e32 v[8:9], v[8:9], v[16:17]
.LBB14_51:                              ;   in Loop: Header=BB14_43 Depth=1
	s_or_b32 exec_lo, exec_lo, s13
.LBB14_52:                              ;   in Loop: Header=BB14_43 Depth=1
	s_delay_alu instid0(SALU_CYCLE_1)
	s_or_b32 exec_lo, exec_lo, s12
	s_wait_storecnt 0x0
	s_barrier_signal -1
	s_barrier_wait -1
	ds_store_b64 v4, v[6:7]
	ds_store_b64 v1, v[8:9]
	s_wait_dscnt 0x0
	s_barrier_signal -1
	s_barrier_wait -1
	s_and_saveexec_b32 s12, s3
	s_cbranch_execz .LBB14_56
; %bb.53:                               ;   in Loop: Header=BB14_43 Depth=1
	ds_load_b64 v[16:17], v18
	s_mov_b32 s13, exec_lo
	s_wait_dscnt 0x0
	v_cmpx_eq_u64_e64 v[6:7], v[16:17]
	s_cbranch_execz .LBB14_55
; %bb.54:                               ;   in Loop: Header=BB14_43 Depth=1
	ds_load_b64 v[16:17], v26
	s_wait_dscnt 0x0
	v_add_f64_e32 v[8:9], v[8:9], v[16:17]
.LBB14_55:                              ;   in Loop: Header=BB14_43 Depth=1
	s_or_b32 exec_lo, exec_lo, s13
.LBB14_56:                              ;   in Loop: Header=BB14_43 Depth=1
	s_delay_alu instid0(SALU_CYCLE_1)
	s_or_b32 exec_lo, exec_lo, s12
	s_barrier_signal -1
	s_barrier_wait -1
	ds_store_b64 v1, v[8:9]
	s_wait_dscnt 0x0
	s_barrier_signal -1
	s_barrier_wait -1
	s_and_saveexec_b32 s12, s4
	s_cbranch_execz .LBB14_60
; %bb.57:                               ;   in Loop: Header=BB14_43 Depth=1
	ds_load_b64 v[16:17], v19
	s_mov_b32 s13, exec_lo
	s_wait_dscnt 0x0
	v_cmpx_eq_u64_e64 v[6:7], v[16:17]
	s_cbranch_execz .LBB14_59
; %bb.58:                               ;   in Loop: Header=BB14_43 Depth=1
	ds_load_b64 v[16:17], v27
	s_wait_dscnt 0x0
	v_add_f64_e32 v[8:9], v[8:9], v[16:17]
.LBB14_59:                              ;   in Loop: Header=BB14_43 Depth=1
	s_or_b32 exec_lo, exec_lo, s13
.LBB14_60:                              ;   in Loop: Header=BB14_43 Depth=1
	s_delay_alu instid0(SALU_CYCLE_1)
	s_or_b32 exec_lo, exec_lo, s12
	s_barrier_signal -1
	s_barrier_wait -1
	;; [unrolled: 23-line block ×8, first 2 shown]
	ds_store_b64 v1, v[8:9]
	s_wait_dscnt 0x0
	s_barrier_signal -1
	s_barrier_wait -1
	s_and_saveexec_b32 s13, s11
	s_cbranch_execz .LBB14_42
; %bb.85:                               ;   in Loop: Header=BB14_43 Depth=1
	ds_load_b64 v[16:17], v4 offset:8
	v_cmp_lt_i64_e64 s12, -1, v[6:7]
	s_wait_dscnt 0x0
	v_cmp_ne_u64_e32 vcc_lo, v[6:7], v[16:17]
	s_and_b32 s12, s12, vcc_lo
	s_delay_alu instid0(SALU_CYCLE_1)
	s_and_b32 exec_lo, exec_lo, s12
	s_cbranch_execz .LBB14_42
; %bb.86:                               ;   in Loop: Header=BB14_43 Depth=1
	s_wait_kmcnt 0x0
	v_lshl_add_u64 v[16:17], v[6:7], 3, s[26:27]
	global_load_b64 v[34:35], v[16:17], off
	s_wait_loadcnt 0x0
	v_fmac_f64_e32 v[34:35], v[2:3], v[8:9]
	global_store_b64 v[16:17], v[34:35], off
	s_branch .LBB14_42
.LBB14_87:
	s_load_b128 s[0:3], s[0:1], 0x38
	v_cmp_eq_u32_e32 vcc_lo, 0xff, v0
	s_and_b32 exec_lo, exec_lo, vcc_lo
	s_cbranch_execz .LBB14_89
; %bb.88:
	v_dual_mul_f64 v[0:1], v[2:3], v[8:9] :: v_dual_mov_b32 v2, 0
	s_lshl_b64 s[4:5], s[24:25], 3
	s_wait_kmcnt 0x0
	s_add_nc_u64 s[0:1], s[0:1], s[4:5]
	s_add_nc_u64 s[2:3], s[2:3], s[4:5]
	s_clause 0x1
	global_store_b64 v2, v[6:7], s[0:1] th:TH_STORE_NT
	global_store_b64 v2, v[0:1], s[2:3] th:TH_STORE_NT
.LBB14_89:
	s_endpgm
	.section	.rodata,"a",@progbits
	.p2align	6, 0x0
	.amdhsa_kernel _ZN9rocsparseL26coomvn_aos_segmented_loopsILj256ElddddEEvlT0_NS_24const_host_device_scalarIT4_EEPKS1_PKT1_PKT2_PT3_PS1_PS3_21rocsparse_index_base_b
		.amdhsa_group_segment_fixed_size 4096
		.amdhsa_private_segment_fixed_size 0
		.amdhsa_kernarg_size 80
		.amdhsa_user_sgpr_count 2
		.amdhsa_user_sgpr_dispatch_ptr 0
		.amdhsa_user_sgpr_queue_ptr 0
		.amdhsa_user_sgpr_kernarg_segment_ptr 1
		.amdhsa_user_sgpr_dispatch_id 0
		.amdhsa_user_sgpr_kernarg_preload_length 0
		.amdhsa_user_sgpr_kernarg_preload_offset 0
		.amdhsa_user_sgpr_private_segment_size 0
		.amdhsa_wavefront_size32 1
		.amdhsa_uses_dynamic_stack 0
		.amdhsa_enable_private_segment 0
		.amdhsa_system_sgpr_workgroup_id_x 1
		.amdhsa_system_sgpr_workgroup_id_y 0
		.amdhsa_system_sgpr_workgroup_id_z 0
		.amdhsa_system_sgpr_workgroup_info 0
		.amdhsa_system_vgpr_workitem_id 0
		.amdhsa_next_free_vgpr 38
		.amdhsa_next_free_sgpr 36
		.amdhsa_named_barrier_count 0
		.amdhsa_reserve_vcc 1
		.amdhsa_float_round_mode_32 0
		.amdhsa_float_round_mode_16_64 0
		.amdhsa_float_denorm_mode_32 3
		.amdhsa_float_denorm_mode_16_64 3
		.amdhsa_fp16_overflow 0
		.amdhsa_memory_ordered 1
		.amdhsa_forward_progress 1
		.amdhsa_inst_pref_size 22
		.amdhsa_round_robin_scheduling 0
		.amdhsa_exception_fp_ieee_invalid_op 0
		.amdhsa_exception_fp_denorm_src 0
		.amdhsa_exception_fp_ieee_div_zero 0
		.amdhsa_exception_fp_ieee_overflow 0
		.amdhsa_exception_fp_ieee_underflow 0
		.amdhsa_exception_fp_ieee_inexact 0
		.amdhsa_exception_int_div_zero 0
	.end_amdhsa_kernel
	.section	.text._ZN9rocsparseL26coomvn_aos_segmented_loopsILj256ElddddEEvlT0_NS_24const_host_device_scalarIT4_EEPKS1_PKT1_PKT2_PT3_PS1_PS3_21rocsparse_index_base_b,"axG",@progbits,_ZN9rocsparseL26coomvn_aos_segmented_loopsILj256ElddddEEvlT0_NS_24const_host_device_scalarIT4_EEPKS1_PKT1_PKT2_PT3_PS1_PS3_21rocsparse_index_base_b,comdat
.Lfunc_end14:
	.size	_ZN9rocsparseL26coomvn_aos_segmented_loopsILj256ElddddEEvlT0_NS_24const_host_device_scalarIT4_EEPKS1_PKT1_PKT2_PT3_PS1_PS3_21rocsparse_index_base_b, .Lfunc_end14-_ZN9rocsparseL26coomvn_aos_segmented_loopsILj256ElddddEEvlT0_NS_24const_host_device_scalarIT4_EEPKS1_PKT1_PKT2_PT3_PS1_PS3_21rocsparse_index_base_b
                                        ; -- End function
	.set _ZN9rocsparseL26coomvn_aos_segmented_loopsILj256ElddddEEvlT0_NS_24const_host_device_scalarIT4_EEPKS1_PKT1_PKT2_PT3_PS1_PS3_21rocsparse_index_base_b.num_vgpr, 38
	.set _ZN9rocsparseL26coomvn_aos_segmented_loopsILj256ElddddEEvlT0_NS_24const_host_device_scalarIT4_EEPKS1_PKT1_PKT2_PT3_PS1_PS3_21rocsparse_index_base_b.num_agpr, 0
	.set _ZN9rocsparseL26coomvn_aos_segmented_loopsILj256ElddddEEvlT0_NS_24const_host_device_scalarIT4_EEPKS1_PKT1_PKT2_PT3_PS1_PS3_21rocsparse_index_base_b.numbered_sgpr, 36
	.set _ZN9rocsparseL26coomvn_aos_segmented_loopsILj256ElddddEEvlT0_NS_24const_host_device_scalarIT4_EEPKS1_PKT1_PKT2_PT3_PS1_PS3_21rocsparse_index_base_b.num_named_barrier, 0
	.set _ZN9rocsparseL26coomvn_aos_segmented_loopsILj256ElddddEEvlT0_NS_24const_host_device_scalarIT4_EEPKS1_PKT1_PKT2_PT3_PS1_PS3_21rocsparse_index_base_b.private_seg_size, 0
	.set _ZN9rocsparseL26coomvn_aos_segmented_loopsILj256ElddddEEvlT0_NS_24const_host_device_scalarIT4_EEPKS1_PKT1_PKT2_PT3_PS1_PS3_21rocsparse_index_base_b.uses_vcc, 1
	.set _ZN9rocsparseL26coomvn_aos_segmented_loopsILj256ElddddEEvlT0_NS_24const_host_device_scalarIT4_EEPKS1_PKT1_PKT2_PT3_PS1_PS3_21rocsparse_index_base_b.uses_flat_scratch, 0
	.set _ZN9rocsparseL26coomvn_aos_segmented_loopsILj256ElddddEEvlT0_NS_24const_host_device_scalarIT4_EEPKS1_PKT1_PKT2_PT3_PS1_PS3_21rocsparse_index_base_b.has_dyn_sized_stack, 0
	.set _ZN9rocsparseL26coomvn_aos_segmented_loopsILj256ElddddEEvlT0_NS_24const_host_device_scalarIT4_EEPKS1_PKT1_PKT2_PT3_PS1_PS3_21rocsparse_index_base_b.has_recursion, 0
	.set _ZN9rocsparseL26coomvn_aos_segmented_loopsILj256ElddddEEvlT0_NS_24const_host_device_scalarIT4_EEPKS1_PKT1_PKT2_PT3_PS1_PS3_21rocsparse_index_base_b.has_indirect_call, 0
	.section	.AMDGPU.csdata,"",@progbits
; Kernel info:
; codeLenInByte = 2784
; TotalNumSgprs: 38
; NumVgprs: 38
; ScratchSize: 0
; MemoryBound: 1
; FloatMode: 240
; IeeeMode: 1
; LDSByteSize: 4096 bytes/workgroup (compile time only)
; SGPRBlocks: 0
; VGPRBlocks: 2
; NumSGPRsForWavesPerEU: 38
; NumVGPRsForWavesPerEU: 38
; NamedBarCnt: 0
; Occupancy: 16
; WaveLimiterHint : 1
; COMPUTE_PGM_RSRC2:SCRATCH_EN: 0
; COMPUTE_PGM_RSRC2:USER_SGPR: 2
; COMPUTE_PGM_RSRC2:TRAP_HANDLER: 0
; COMPUTE_PGM_RSRC2:TGID_X_EN: 1
; COMPUTE_PGM_RSRC2:TGID_Y_EN: 0
; COMPUTE_PGM_RSRC2:TGID_Z_EN: 0
; COMPUTE_PGM_RSRC2:TIDIG_COMP_CNT: 0
	.section	.text._ZN9rocsparseL29coomvn_segmented_loops_reduceILj256ElddEEvT0_NS_24const_host_device_scalarIT2_EEPKS1_PKS3_PT1_b,"axG",@progbits,_ZN9rocsparseL29coomvn_segmented_loops_reduceILj256ElddEEvT0_NS_24const_host_device_scalarIT2_EEPKS1_PKS3_PT1_b,comdat
	.globl	_ZN9rocsparseL29coomvn_segmented_loops_reduceILj256ElddEEvT0_NS_24const_host_device_scalarIT2_EEPKS1_PKS3_PT1_b ; -- Begin function _ZN9rocsparseL29coomvn_segmented_loops_reduceILj256ElddEEvT0_NS_24const_host_device_scalarIT2_EEPKS1_PKS3_PT1_b
	.p2align	8
	.type	_ZN9rocsparseL29coomvn_segmented_loops_reduceILj256ElddEEvT0_NS_24const_host_device_scalarIT2_EEPKS1_PKS3_PT1_b,@function
_ZN9rocsparseL29coomvn_segmented_loops_reduceILj256ElddEEvT0_NS_24const_host_device_scalarIT2_EEPKS1_PKS3_PT1_b: ; @_ZN9rocsparseL29coomvn_segmented_loops_reduceILj256ElddEEvT0_NS_24const_host_device_scalarIT2_EEPKS1_PKS3_PT1_b
; %bb.0:
	s_clause 0x1
	s_load_b32 s2, s[0:1], 0x28
	s_load_b128 s[4:7], s[0:1], 0x0
	s_wait_kmcnt 0x0
	s_bitcmp1_b32 s2, 0
	v_mov_b64_e32 v[2:3], s[6:7]
	s_cselect_b32 s2, -1, 0
	s_delay_alu instid0(SALU_CYCLE_1)
	s_and_b32 vcc_lo, exec_lo, s2
	s_cbranch_vccnz .LBB15_2
; %bb.1:
	v_mov_b32_e32 v1, 0
	flat_load_b64 v[2:3], v1, s[6:7]
.LBB15_2:
	s_mov_b32 s2, exec_lo
	s_wait_loadcnt_dscnt 0x0
	s_delay_alu instid0(VALU_DEP_1)
	v_cmpx_neq_f64_e32 0, v[2:3]
	s_cbranch_execz .LBB15_44
; %bb.3:
	v_cmp_lt_i64_e64 s2, s[4:5], 1
	s_and_b32 vcc_lo, exec_lo, s2
	s_cbranch_vccnz .LBB15_44
; %bb.4:
	s_clause 0x1
	s_load_b128 s[8:11], s[0:1], 0x10
	s_load_b64 s[2:3], s[0:1], 0x20
	s_wait_xcnt 0x0
	v_sub_co_u32 v3, s0, v0, 1
	s_xor_b32 s12, s0, -1
	v_sub_co_u32 v4, s0, v0, 2
	v_lshl_add_u32 v16, v3, 3, 0x800
	s_xor_b32 s13, s0, -1
	v_sub_co_u32 v3, s0, v0, 4
	s_delay_alu instid0(VALU_DEP_3) | instskip(SKIP_2) | instid1(VALU_DEP_3)
	v_lshl_add_u32 v18, v4, 3, 0x800
	s_xor_b32 s14, s0, -1
	v_sub_co_u32 v4, s0, v0, 8
	v_lshl_add_u32 v20, v3, 3, 0x800
	s_xor_b32 s15, s0, -1
	v_sub_co_u32 v3, s0, v0, 16
	v_dual_mov_b32 v1, 0 :: v_dual_lshlrev_b32 v2, 3, v0
	v_lshl_add_u32 v22, v4, 3, 0x800
	s_xor_b32 s16, s0, -1
	v_sub_co_u32 v4, s0, v0, 32
	v_lshl_add_u32 v24, v3, 3, 0x800
	v_mov_b32_e32 v3, v1
	v_subrev_co_u32 v8, s6, 0x80, v0
	s_delay_alu instid0(VALU_DEP_4)
	v_lshl_add_u32 v26, v4, 3, 0x800
	v_sub_co_u32 v4, s1, v0, 64
	s_wait_kmcnt 0x0
	v_add_nc_u64_e32 v[6:7], s[8:9], v[2:3]
	v_or_b32_e32 v14, 0x800, v2
	v_dual_add_nc_u32 v15, -8, v2 :: v_dual_add_nc_u32 v17, -16, v2
	v_lshl_add_u32 v28, v4, 3, 0x800
	v_add_nc_u64_e32 v[4:5], s[10:11], v[2:3]
	v_subrev_nc_u32_e32 v19, 32, v2
	v_subrev_nc_u32_e32 v21, 64, v2
	v_add_nc_u32_e32 v23, 0xffffff80, v2
	s_xor_b32 s17, s0, -1
	v_add_nc_u32_e32 v25, 0xffffff00, v2
	v_add_nc_u32_e32 v27, 0xfffffe00, v2
	;; [unrolled: 1-line block ×3, first 2 shown]
	v_lshl_add_u32 v3, v8, 3, 0x800
	v_cmp_gt_u32_e64 s0, 0xff, v0
	s_xor_b32 s8, s1, -1
	s_xor_b32 s9, s6, -1
	s_mov_b64 s[6:7], 0
	s_branch .LBB15_6
.LBB15_5:                               ;   in Loop: Header=BB15_6 Depth=1
	s_wait_xcnt 0x0
	s_or_b32 exec_lo, exec_lo, s1
	s_add_nc_u64 s[6:7], s[6:7], 0x100
	v_add_nc_u64_e32 v[4:5], 0x800, v[4:5]
	v_cmp_lt_i64_e64 s1, s[6:7], s[4:5]
	v_add_nc_u64_e32 v[6:7], 0x800, v[6:7]
	s_wait_storecnt 0x0
	s_barrier_signal -1
	s_barrier_wait -1
	s_and_b32 vcc_lo, exec_lo, s1
	s_cbranch_vccz .LBB15_44
.LBB15_6:                               ; =>This Inner Loop Header: Depth=1
	v_add_nc_u64_e32 v[12:13], s[6:7], v[0:1]
	v_mov_b64_e32 v[8:9], 0
	v_mov_b64_e32 v[10:11], -1
	s_delay_alu instid0(VALU_DEP_3)
	v_cmp_gt_i64_e32 vcc_lo, s[4:5], v[12:13]
	v_mov_b64_e32 v[12:13], 0
	s_and_saveexec_b32 s1, vcc_lo
	s_cbranch_execz .LBB15_8
; %bb.7:                                ;   in Loop: Header=BB15_6 Depth=1
	global_load_b64 v[10:11], v[6:7], off
	global_load_b64 v[12:13], v[4:5], off
.LBB15_8:                               ;   in Loop: Header=BB15_6 Depth=1
	s_wait_xcnt 0x0
	s_or_b32 exec_lo, exec_lo, s1
	s_wait_loadcnt 0x1
	ds_store_b64 v2, v[10:11]
	s_wait_loadcnt 0x0
	ds_store_b64 v14, v[12:13]
	s_wait_dscnt 0x0
	s_barrier_signal -1
	s_barrier_wait -1
	s_and_saveexec_b32 s1, s12
	s_cbranch_execz .LBB15_12
; %bb.9:                                ;   in Loop: Header=BB15_6 Depth=1
	ds_load_2addr_b64 v[8:11], v15 offset1:1
	s_wait_dscnt 0x0
	v_cmp_eq_u64_e32 vcc_lo, v[10:11], v[8:9]
	v_mov_b64_e32 v[8:9], 0
	s_and_saveexec_b32 s10, vcc_lo
; %bb.10:                               ;   in Loop: Header=BB15_6 Depth=1
	ds_load_b64 v[8:9], v16
; %bb.11:                               ;   in Loop: Header=BB15_6 Depth=1
	s_or_b32 exec_lo, exec_lo, s10
.LBB15_12:                              ;   in Loop: Header=BB15_6 Depth=1
	s_delay_alu instid0(SALU_CYCLE_1)
	s_or_b32 exec_lo, exec_lo, s1
	s_wait_dscnt 0x0
	s_barrier_signal -1
	s_barrier_wait -1
	ds_load_b64 v[10:11], v14
	s_wait_dscnt 0x0
	v_add_f64_e32 v[12:13], v[8:9], v[10:11]
	v_mov_b64_e32 v[8:9], 0
	v_mov_b64_e32 v[10:11], 0
	ds_store_b64 v14, v[12:13]
	s_wait_dscnt 0x0
	s_barrier_signal -1
	s_barrier_wait -1
	s_and_saveexec_b32 s1, s13
	s_cbranch_execz .LBB15_16
; %bb.13:                               ;   in Loop: Header=BB15_6 Depth=1
	ds_load_b64 v[10:11], v2
	ds_load_b64 v[12:13], v17
	s_wait_dscnt 0x0
	v_cmp_eq_u64_e32 vcc_lo, v[10:11], v[12:13]
	v_mov_b64_e32 v[10:11], 0
	s_and_saveexec_b32 s10, vcc_lo
; %bb.14:                               ;   in Loop: Header=BB15_6 Depth=1
	ds_load_b64 v[10:11], v18
; %bb.15:                               ;   in Loop: Header=BB15_6 Depth=1
	s_or_b32 exec_lo, exec_lo, s10
.LBB15_16:                              ;   in Loop: Header=BB15_6 Depth=1
	s_delay_alu instid0(SALU_CYCLE_1)
	s_or_b32 exec_lo, exec_lo, s1
	s_wait_dscnt 0x0
	s_barrier_signal -1
	s_barrier_wait -1
	ds_load_b64 v[12:13], v14
	s_wait_dscnt 0x0
	v_add_f64_e32 v[10:11], v[10:11], v[12:13]
	ds_store_b64 v14, v[10:11]
	s_wait_dscnt 0x0
	s_barrier_signal -1
	s_barrier_wait -1
	s_and_saveexec_b32 s1, s14
	s_cbranch_execz .LBB15_20
; %bb.17:                               ;   in Loop: Header=BB15_6 Depth=1
	ds_load_b64 v[8:9], v2
	ds_load_b64 v[10:11], v19
	s_wait_dscnt 0x0
	v_cmp_eq_u64_e32 vcc_lo, v[8:9], v[10:11]
	v_mov_b64_e32 v[8:9], 0
	s_and_saveexec_b32 s10, vcc_lo
; %bb.18:                               ;   in Loop: Header=BB15_6 Depth=1
	ds_load_b64 v[8:9], v20
; %bb.19:                               ;   in Loop: Header=BB15_6 Depth=1
	s_or_b32 exec_lo, exec_lo, s10
.LBB15_20:                              ;   in Loop: Header=BB15_6 Depth=1
	s_delay_alu instid0(SALU_CYCLE_1)
	s_or_b32 exec_lo, exec_lo, s1
	s_wait_dscnt 0x0
	s_barrier_signal -1
	s_barrier_wait -1
	ds_load_b64 v[10:11], v14
	s_wait_dscnt 0x0
	v_add_f64_e32 v[12:13], v[8:9], v[10:11]
	v_mov_b64_e32 v[8:9], 0
	v_mov_b64_e32 v[10:11], 0
	ds_store_b64 v14, v[12:13]
	s_wait_dscnt 0x0
	s_barrier_signal -1
	s_barrier_wait -1
	s_and_saveexec_b32 s1, s15
	s_cbranch_execz .LBB15_24
; %bb.21:                               ;   in Loop: Header=BB15_6 Depth=1
	ds_load_b64 v[10:11], v2
	ds_load_b64 v[12:13], v21
	s_wait_dscnt 0x0
	v_cmp_eq_u64_e32 vcc_lo, v[10:11], v[12:13]
	v_mov_b64_e32 v[10:11], 0
	s_and_saveexec_b32 s10, vcc_lo
; %bb.22:                               ;   in Loop: Header=BB15_6 Depth=1
	ds_load_b64 v[10:11], v22
; %bb.23:                               ;   in Loop: Header=BB15_6 Depth=1
	s_or_b32 exec_lo, exec_lo, s10
.LBB15_24:                              ;   in Loop: Header=BB15_6 Depth=1
	s_delay_alu instid0(SALU_CYCLE_1)
	s_or_b32 exec_lo, exec_lo, s1
	s_wait_dscnt 0x0
	s_barrier_signal -1
	s_barrier_wait -1
	ds_load_b64 v[12:13], v14
	s_wait_dscnt 0x0
	v_add_f64_e32 v[10:11], v[10:11], v[12:13]
	ds_store_b64 v14, v[10:11]
	s_wait_dscnt 0x0
	s_barrier_signal -1
	s_barrier_wait -1
	s_and_saveexec_b32 s1, s16
	s_cbranch_execz .LBB15_28
; %bb.25:                               ;   in Loop: Header=BB15_6 Depth=1
	ds_load_b64 v[8:9], v2
	ds_load_b64 v[10:11], v23
	s_wait_dscnt 0x0
	v_cmp_eq_u64_e32 vcc_lo, v[8:9], v[10:11]
	v_mov_b64_e32 v[8:9], 0
	s_and_saveexec_b32 s10, vcc_lo
; %bb.26:                               ;   in Loop: Header=BB15_6 Depth=1
	ds_load_b64 v[8:9], v24
; %bb.27:                               ;   in Loop: Header=BB15_6 Depth=1
	s_or_b32 exec_lo, exec_lo, s10
.LBB15_28:                              ;   in Loop: Header=BB15_6 Depth=1
	;; [unrolled: 54-line block ×3, first 2 shown]
	s_delay_alu instid0(SALU_CYCLE_1)
	s_or_b32 exec_lo, exec_lo, s1
	s_wait_dscnt 0x0
	s_barrier_signal -1
	s_barrier_wait -1
	ds_load_b64 v[10:11], v14
	s_wait_dscnt 0x0
	v_add_f64_e32 v[10:11], v[8:9], v[10:11]
	v_mov_b64_e32 v[8:9], 0
	ds_store_b64 v14, v[10:11]
	s_wait_dscnt 0x0
	s_barrier_signal -1
	s_barrier_wait -1
	s_and_saveexec_b32 s1, s9
	s_cbranch_execz .LBB15_40
; %bb.37:                               ;   in Loop: Header=BB15_6 Depth=1
	ds_load_b64 v[8:9], v2
	ds_load_b64 v[10:11], v29
	s_wait_dscnt 0x0
	v_cmp_eq_u64_e32 vcc_lo, v[8:9], v[10:11]
	v_mov_b64_e32 v[8:9], 0
	s_and_saveexec_b32 s10, vcc_lo
; %bb.38:                               ;   in Loop: Header=BB15_6 Depth=1
	ds_load_b64 v[8:9], v3
; %bb.39:                               ;   in Loop: Header=BB15_6 Depth=1
	s_or_b32 exec_lo, exec_lo, s10
.LBB15_40:                              ;   in Loop: Header=BB15_6 Depth=1
	s_delay_alu instid0(SALU_CYCLE_1)
	s_or_b32 exec_lo, exec_lo, s1
	s_wait_dscnt 0x0
	s_barrier_signal -1
	s_barrier_wait -1
	ds_load_b64 v[10:11], v14
	s_wait_dscnt 0x0
	v_add_f64_e32 v[8:9], v[8:9], v[10:11]
	v_mov_b64_e32 v[10:11], -1
	ds_store_b64 v14, v[8:9]
	s_wait_dscnt 0x0
	s_barrier_signal -1
	s_barrier_wait -1
	ds_load_b64 v[8:9], v2
	s_and_saveexec_b32 s1, s0
; %bb.41:                               ;   in Loop: Header=BB15_6 Depth=1
	ds_load_b64 v[10:11], v2 offset:8
; %bb.42:                               ;   in Loop: Header=BB15_6 Depth=1
	s_or_b32 exec_lo, exec_lo, s1
	s_wait_dscnt 0x0
	v_cmp_ne_u64_e32 vcc_lo, v[8:9], v[10:11]
	v_cmp_lt_i64_e64 s1, -1, v[8:9]
	s_and_b32 s10, s1, vcc_lo
	s_delay_alu instid0(SALU_CYCLE_1)
	s_and_saveexec_b32 s1, s10
	s_cbranch_execz .LBB15_5
; %bb.43:                               ;   in Loop: Header=BB15_6 Depth=1
	v_lshl_add_u64 v[8:9], v[8:9], 3, s[2:3]
	ds_load_b64 v[12:13], v14
	global_load_b64 v[10:11], v[8:9], off
	s_wait_loadcnt_dscnt 0x0
	v_add_f64_e32 v[10:11], v[10:11], v[12:13]
	global_store_b64 v[8:9], v[10:11], off
	s_branch .LBB15_5
.LBB15_44:
	s_endpgm
	.section	.rodata,"a",@progbits
	.p2align	6, 0x0
	.amdhsa_kernel _ZN9rocsparseL29coomvn_segmented_loops_reduceILj256ElddEEvT0_NS_24const_host_device_scalarIT2_EEPKS1_PKS3_PT1_b
		.amdhsa_group_segment_fixed_size 4096
		.amdhsa_private_segment_fixed_size 0
		.amdhsa_kernarg_size 44
		.amdhsa_user_sgpr_count 2
		.amdhsa_user_sgpr_dispatch_ptr 0
		.amdhsa_user_sgpr_queue_ptr 0
		.amdhsa_user_sgpr_kernarg_segment_ptr 1
		.amdhsa_user_sgpr_dispatch_id 0
		.amdhsa_user_sgpr_kernarg_preload_length 0
		.amdhsa_user_sgpr_kernarg_preload_offset 0
		.amdhsa_user_sgpr_private_segment_size 0
		.amdhsa_wavefront_size32 1
		.amdhsa_uses_dynamic_stack 0
		.amdhsa_enable_private_segment 0
		.amdhsa_system_sgpr_workgroup_id_x 1
		.amdhsa_system_sgpr_workgroup_id_y 0
		.amdhsa_system_sgpr_workgroup_id_z 0
		.amdhsa_system_sgpr_workgroup_info 0
		.amdhsa_system_vgpr_workitem_id 0
		.amdhsa_next_free_vgpr 30
		.amdhsa_next_free_sgpr 18
		.amdhsa_named_barrier_count 0
		.amdhsa_reserve_vcc 1
		.amdhsa_float_round_mode_32 0
		.amdhsa_float_round_mode_16_64 0
		.amdhsa_float_denorm_mode_32 3
		.amdhsa_float_denorm_mode_16_64 3
		.amdhsa_fp16_overflow 0
		.amdhsa_memory_ordered 1
		.amdhsa_forward_progress 1
		.amdhsa_inst_pref_size 13
		.amdhsa_round_robin_scheduling 0
		.amdhsa_exception_fp_ieee_invalid_op 0
		.amdhsa_exception_fp_denorm_src 0
		.amdhsa_exception_fp_ieee_div_zero 0
		.amdhsa_exception_fp_ieee_overflow 0
		.amdhsa_exception_fp_ieee_underflow 0
		.amdhsa_exception_fp_ieee_inexact 0
		.amdhsa_exception_int_div_zero 0
	.end_amdhsa_kernel
	.section	.text._ZN9rocsparseL29coomvn_segmented_loops_reduceILj256ElddEEvT0_NS_24const_host_device_scalarIT2_EEPKS1_PKS3_PT1_b,"axG",@progbits,_ZN9rocsparseL29coomvn_segmented_loops_reduceILj256ElddEEvT0_NS_24const_host_device_scalarIT2_EEPKS1_PKS3_PT1_b,comdat
.Lfunc_end15:
	.size	_ZN9rocsparseL29coomvn_segmented_loops_reduceILj256ElddEEvT0_NS_24const_host_device_scalarIT2_EEPKS1_PKS3_PT1_b, .Lfunc_end15-_ZN9rocsparseL29coomvn_segmented_loops_reduceILj256ElddEEvT0_NS_24const_host_device_scalarIT2_EEPKS1_PKS3_PT1_b
                                        ; -- End function
	.set _ZN9rocsparseL29coomvn_segmented_loops_reduceILj256ElddEEvT0_NS_24const_host_device_scalarIT2_EEPKS1_PKS3_PT1_b.num_vgpr, 30
	.set _ZN9rocsparseL29coomvn_segmented_loops_reduceILj256ElddEEvT0_NS_24const_host_device_scalarIT2_EEPKS1_PKS3_PT1_b.num_agpr, 0
	.set _ZN9rocsparseL29coomvn_segmented_loops_reduceILj256ElddEEvT0_NS_24const_host_device_scalarIT2_EEPKS1_PKS3_PT1_b.numbered_sgpr, 18
	.set _ZN9rocsparseL29coomvn_segmented_loops_reduceILj256ElddEEvT0_NS_24const_host_device_scalarIT2_EEPKS1_PKS3_PT1_b.num_named_barrier, 0
	.set _ZN9rocsparseL29coomvn_segmented_loops_reduceILj256ElddEEvT0_NS_24const_host_device_scalarIT2_EEPKS1_PKS3_PT1_b.private_seg_size, 0
	.set _ZN9rocsparseL29coomvn_segmented_loops_reduceILj256ElddEEvT0_NS_24const_host_device_scalarIT2_EEPKS1_PKS3_PT1_b.uses_vcc, 1
	.set _ZN9rocsparseL29coomvn_segmented_loops_reduceILj256ElddEEvT0_NS_24const_host_device_scalarIT2_EEPKS1_PKS3_PT1_b.uses_flat_scratch, 0
	.set _ZN9rocsparseL29coomvn_segmented_loops_reduceILj256ElddEEvT0_NS_24const_host_device_scalarIT2_EEPKS1_PKS3_PT1_b.has_dyn_sized_stack, 0
	.set _ZN9rocsparseL29coomvn_segmented_loops_reduceILj256ElddEEvT0_NS_24const_host_device_scalarIT2_EEPKS1_PKS3_PT1_b.has_recursion, 0
	.set _ZN9rocsparseL29coomvn_segmented_loops_reduceILj256ElddEEvT0_NS_24const_host_device_scalarIT2_EEPKS1_PKS3_PT1_b.has_indirect_call, 0
	.section	.AMDGPU.csdata,"",@progbits
; Kernel info:
; codeLenInByte = 1592
; TotalNumSgprs: 20
; NumVgprs: 30
; ScratchSize: 0
; MemoryBound: 0
; FloatMode: 240
; IeeeMode: 1
; LDSByteSize: 4096 bytes/workgroup (compile time only)
; SGPRBlocks: 0
; VGPRBlocks: 1
; NumSGPRsForWavesPerEU: 20
; NumVGPRsForWavesPerEU: 30
; NamedBarCnt: 0
; Occupancy: 16
; WaveLimiterHint : 0
; COMPUTE_PGM_RSRC2:SCRATCH_EN: 0
; COMPUTE_PGM_RSRC2:USER_SGPR: 2
; COMPUTE_PGM_RSRC2:TRAP_HANDLER: 0
; COMPUTE_PGM_RSRC2:TGID_X_EN: 1
; COMPUTE_PGM_RSRC2:TGID_Y_EN: 0
; COMPUTE_PGM_RSRC2:TGID_Z_EN: 0
; COMPUTE_PGM_RSRC2:TIDIG_COMP_CNT: 0
	.section	.text._ZN9rocsparseL23coomvn_aos_atomic_loopsILj256ELj1Ei21rocsparse_complex_numIfES2_S2_S2_EEvlNS_24const_host_device_scalarIT5_EEPKT1_PKT2_PKT3_PT4_21rocsparse_index_base_b,"axG",@progbits,_ZN9rocsparseL23coomvn_aos_atomic_loopsILj256ELj1Ei21rocsparse_complex_numIfES2_S2_S2_EEvlNS_24const_host_device_scalarIT5_EEPKT1_PKT2_PKT3_PT4_21rocsparse_index_base_b,comdat
	.globl	_ZN9rocsparseL23coomvn_aos_atomic_loopsILj256ELj1Ei21rocsparse_complex_numIfES2_S2_S2_EEvlNS_24const_host_device_scalarIT5_EEPKT1_PKT2_PKT3_PT4_21rocsparse_index_base_b ; -- Begin function _ZN9rocsparseL23coomvn_aos_atomic_loopsILj256ELj1Ei21rocsparse_complex_numIfES2_S2_S2_EEvlNS_24const_host_device_scalarIT5_EEPKT1_PKT2_PKT3_PT4_21rocsparse_index_base_b
	.p2align	8
	.type	_ZN9rocsparseL23coomvn_aos_atomic_loopsILj256ELj1Ei21rocsparse_complex_numIfES2_S2_S2_EEvlNS_24const_host_device_scalarIT5_EEPKT1_PKT2_PKT3_PT4_21rocsparse_index_base_b,@function
_ZN9rocsparseL23coomvn_aos_atomic_loopsILj256ELj1Ei21rocsparse_complex_numIfES2_S2_S2_EEvlNS_24const_host_device_scalarIT5_EEPKT1_PKT2_PKT3_PT4_21rocsparse_index_base_b: ; @_ZN9rocsparseL23coomvn_aos_atomic_loopsILj256ELj1Ei21rocsparse_complex_numIfES2_S2_S2_EEvlNS_24const_host_device_scalarIT5_EEPKT1_PKT2_PKT3_PT4_21rocsparse_index_base_b
; %bb.0:
	s_clause 0x1
	s_load_b64 s[8:9], s[0:1], 0x30
	s_load_b128 s[4:7], s[0:1], 0x0
	v_mov_b32_e32 v9, 0
	s_or_b64 s[2:3], s[0:1], 8
	s_wait_kmcnt 0x0
	s_bitcmp1_b32 s9, 0
	s_cselect_b32 s3, s3, s7
	s_cselect_b32 s2, s2, s6
	flat_load_b64 v[2:3], v9, s[2:3]
	s_wait_loadcnt_dscnt 0x0
	v_cmp_neq_f32_e32 vcc_lo, 0, v2
	v_cmp_neq_f32_e64 s2, 0, v3
	s_or_b32 s2, vcc_lo, s2
	s_delay_alu instid0(SALU_CYCLE_1)
	s_and_saveexec_b32 s3, s2
	s_cbranch_execz .LBB16_40
; %bb.1:
	s_bfe_u32 s2, ttmp6, 0x4000c
	s_and_b32 s3, ttmp6, 15
	s_add_co_i32 s2, s2, 1
	s_getreg_b32 s6, hwreg(HW_REG_IB_STS2, 6, 4)
	s_mul_i32 s2, ttmp9, s2
	v_mov_b64_e32 v[4:5], 0
	s_add_co_i32 s3, s3, s2
	s_cmp_eq_u32 s6, 0
	v_mov_b32_e32 v6, -1
	s_cselect_b32 s2, ttmp9, s3
	s_delay_alu instid0(SALU_CYCLE_1) | instskip(SKIP_1) | instid1(VALU_DEP_1)
	v_lshl_or_b32 v8, s2, 8, v0
	s_mov_b32 s2, exec_lo
	v_cmpx_gt_i64_e64 s[4:5], v[8:9]
	s_cbranch_execz .LBB16_3
; %bb.2:
	s_clause 0x1
	s_load_b128 s[4:7], s[0:1], 0x10
	s_load_b64 s[10:11], s[0:1], 0x20
	v_lshlrev_b64_e32 v[4:5], 3, v[8:9]
	s_wait_kmcnt 0x0
	s_delay_alu instid0(VALU_DEP_1)
	v_add_nc_u64_e32 v[6:7], s[4:5], v[4:5]
	v_add_nc_u64_e32 v[4:5], s[6:7], v[4:5]
	global_load_b64 v[6:7], v[6:7], off th:TH_LOAD_NT
	s_wait_loadcnt 0x0
	v_subrev_nc_u32_e32 v1, s8, v7
	v_subrev_nc_u32_e32 v6, s8, v6
	global_load_b64 v[8:9], v1, s[10:11] scale_offset
	global_load_b64 v[10:11], v[4:5], off th:TH_LOAD_NT
	s_wait_loadcnt 0x0
	v_pk_mul_f32 v[4:5], v[8:9], v[10:11] op_sel:[1,1] op_sel_hi:[1,0] neg_lo:[0,1]
	s_delay_alu instid0(VALU_DEP_1)
	v_pk_fma_f32 v[4:5], v[10:11], v[8:9], v[4:5] op_sel_hi:[1,0,1]
.LBB16_3:
	s_or_b32 exec_lo, exec_lo, s2
	v_dual_lshlrev_b32 v8, 2, v0 :: v_dual_lshlrev_b32 v7, 3, v0
	s_mov_b32 s2, exec_lo
	ds_store_b32 v8, v6 offset:2048
	ds_store_b64 v7, v[4:5]
	v_or_b32_e32 v1, 0x800, v8
	s_wait_dscnt 0x0
	s_barrier_signal -1
	s_barrier_wait -1
	v_cmpx_ne_u32_e32 0, v0
	s_cbranch_execz .LBB16_7
; %bb.4:
	v_add_nc_u32_e32 v8, -4, v1
	s_mov_b32 s3, exec_lo
	ds_load_b32 v8, v8
	s_wait_dscnt 0x0
	v_cmpx_eq_u32_e64 v6, v8
	s_cbranch_execz .LBB16_6
; %bb.5:
	v_add_nc_u32_e32 v8, -8, v7
	ds_load_b64 v[8:9], v8
	s_wait_dscnt 0x0
	v_pk_add_f32 v[4:5], v[4:5], v[8:9]
.LBB16_6:
	s_or_b32 exec_lo, exec_lo, s3
.LBB16_7:
	s_delay_alu instid0(SALU_CYCLE_1) | instskip(NEXT) | instid1(SALU_CYCLE_1)
	s_or_b32 exec_lo, exec_lo, s2
	s_mov_b32 s2, exec_lo
	s_barrier_signal -1
	s_barrier_wait -1
	ds_store_b64 v7, v[4:5]
	s_wait_dscnt 0x0
	s_barrier_signal -1
	s_barrier_wait -1
	v_cmpx_lt_u32_e32 1, v0
	s_cbranch_execz .LBB16_11
; %bb.8:
	v_add_nc_u32_e32 v8, -8, v1
	s_mov_b32 s3, exec_lo
	ds_load_b32 v8, v8
	s_wait_dscnt 0x0
	v_cmpx_eq_u32_e64 v6, v8
	s_cbranch_execz .LBB16_10
; %bb.9:
	v_add_nc_u32_e32 v8, -16, v7
	ds_load_b64 v[8:9], v8
	s_wait_dscnt 0x0
	v_pk_add_f32 v[4:5], v[4:5], v[8:9]
.LBB16_10:
	s_or_b32 exec_lo, exec_lo, s3
.LBB16_11:
	s_delay_alu instid0(SALU_CYCLE_1) | instskip(NEXT) | instid1(SALU_CYCLE_1)
	s_or_b32 exec_lo, exec_lo, s2
	s_mov_b32 s2, exec_lo
	s_barrier_signal -1
	s_barrier_wait -1
	ds_store_b64 v7, v[4:5]
	s_wait_dscnt 0x0
	s_barrier_signal -1
	s_barrier_wait -1
	v_cmpx_lt_u32_e32 3, v0
	s_cbranch_execz .LBB16_15
; %bb.12:
	v_add_nc_u32_e32 v8, -16, v1
	s_mov_b32 s3, exec_lo
	ds_load_b32 v8, v8
	s_wait_dscnt 0x0
	v_cmpx_eq_u32_e64 v6, v8
	s_cbranch_execz .LBB16_14
; %bb.13:
	v_subrev_nc_u32_e32 v8, 32, v7
	ds_load_b64 v[8:9], v8
	s_wait_dscnt 0x0
	v_pk_add_f32 v[4:5], v[4:5], v[8:9]
.LBB16_14:
	s_or_b32 exec_lo, exec_lo, s3
.LBB16_15:
	s_delay_alu instid0(SALU_CYCLE_1) | instskip(NEXT) | instid1(SALU_CYCLE_1)
	s_or_b32 exec_lo, exec_lo, s2
	s_mov_b32 s2, exec_lo
	s_barrier_signal -1
	s_barrier_wait -1
	ds_store_b64 v7, v[4:5]
	s_wait_dscnt 0x0
	s_barrier_signal -1
	s_barrier_wait -1
	v_cmpx_lt_u32_e32 7, v0
	s_cbranch_execz .LBB16_19
; %bb.16:
	v_subrev_nc_u32_e32 v8, 32, v1
	s_mov_b32 s3, exec_lo
	ds_load_b32 v8, v8
	s_wait_dscnt 0x0
	v_cmpx_eq_u32_e64 v6, v8
	s_cbranch_execz .LBB16_18
; %bb.17:
	v_subrev_nc_u32_e32 v8, 64, v7
	ds_load_b64 v[8:9], v8
	s_wait_dscnt 0x0
	v_pk_add_f32 v[4:5], v[4:5], v[8:9]
.LBB16_18:
	s_or_b32 exec_lo, exec_lo, s3
.LBB16_19:
	s_delay_alu instid0(SALU_CYCLE_1) | instskip(NEXT) | instid1(SALU_CYCLE_1)
	s_or_b32 exec_lo, exec_lo, s2
	s_mov_b32 s2, exec_lo
	s_barrier_signal -1
	s_barrier_wait -1
	ds_store_b64 v7, v[4:5]
	s_wait_dscnt 0x0
	s_barrier_signal -1
	s_barrier_wait -1
	v_cmpx_lt_u32_e32 15, v0
	s_cbranch_execz .LBB16_23
; %bb.20:
	v_subrev_nc_u32_e32 v8, 64, v1
	s_mov_b32 s3, exec_lo
	ds_load_b32 v8, v8
	s_wait_dscnt 0x0
	v_cmpx_eq_u32_e64 v6, v8
	s_cbranch_execz .LBB16_22
; %bb.21:
	v_add_nc_u32_e32 v8, 0xffffff80, v7
	ds_load_b64 v[8:9], v8
	s_wait_dscnt 0x0
	v_pk_add_f32 v[4:5], v[4:5], v[8:9]
.LBB16_22:
	s_or_b32 exec_lo, exec_lo, s3
.LBB16_23:
	s_delay_alu instid0(SALU_CYCLE_1) | instskip(NEXT) | instid1(SALU_CYCLE_1)
	s_or_b32 exec_lo, exec_lo, s2
	s_mov_b32 s2, exec_lo
	s_barrier_signal -1
	s_barrier_wait -1
	ds_store_b64 v7, v[4:5]
	s_wait_dscnt 0x0
	s_barrier_signal -1
	s_barrier_wait -1
	v_cmpx_lt_u32_e32 31, v0
	s_cbranch_execz .LBB16_27
; %bb.24:
	v_add_nc_u32_e32 v8, 0xffffff80, v1
	s_mov_b32 s3, exec_lo
	ds_load_b32 v8, v8
	s_wait_dscnt 0x0
	v_cmpx_eq_u32_e64 v6, v8
	s_cbranch_execz .LBB16_26
; %bb.25:
	v_add_nc_u32_e32 v8, 0xffffff00, v7
	ds_load_b64 v[8:9], v8
	s_wait_dscnt 0x0
	v_pk_add_f32 v[4:5], v[4:5], v[8:9]
.LBB16_26:
	s_or_b32 exec_lo, exec_lo, s3
.LBB16_27:
	s_delay_alu instid0(SALU_CYCLE_1) | instskip(NEXT) | instid1(SALU_CYCLE_1)
	s_or_b32 exec_lo, exec_lo, s2
	s_mov_b32 s2, exec_lo
	s_barrier_signal -1
	s_barrier_wait -1
	ds_store_b64 v7, v[4:5]
	s_wait_dscnt 0x0
	s_barrier_signal -1
	s_barrier_wait -1
	v_cmpx_lt_u32_e32 63, v0
	s_cbranch_execz .LBB16_31
; %bb.28:
	v_add_nc_u32_e32 v8, 0xffffff00, v1
	s_mov_b32 s3, exec_lo
	ds_load_b32 v8, v8
	s_wait_dscnt 0x0
	v_cmpx_eq_u32_e64 v6, v8
	s_cbranch_execz .LBB16_30
; %bb.29:
	v_add_nc_u32_e32 v8, 0xfffffe00, v7
	ds_load_b64 v[8:9], v8
	s_wait_dscnt 0x0
	v_pk_add_f32 v[4:5], v[4:5], v[8:9]
.LBB16_30:
	s_or_b32 exec_lo, exec_lo, s3
.LBB16_31:
	s_delay_alu instid0(SALU_CYCLE_1)
	s_or_b32 exec_lo, exec_lo, s2
	s_load_b64 s[2:3], s[0:1], 0x28
	s_wait_xcnt 0x0
	s_mov_b32 s0, exec_lo
	s_barrier_signal -1
	s_barrier_wait -1
	ds_store_b64 v7, v[4:5]
	s_wait_dscnt 0x0
	s_barrier_signal -1
	s_barrier_wait -1
	v_cmpx_lt_u32_e32 0x7f, v0
	s_cbranch_execz .LBB16_35
; %bb.32:
	v_add_nc_u32_e32 v8, 0xfffffe00, v1
	s_mov_b32 s1, exec_lo
	ds_load_b32 v8, v8
	s_wait_dscnt 0x0
	v_cmpx_eq_u32_e64 v6, v8
	s_cbranch_execz .LBB16_34
; %bb.33:
	v_add_nc_u32_e32 v8, 0xfffffc00, v7
	ds_load_b64 v[8:9], v8
	s_wait_dscnt 0x0
	v_pk_add_f32 v[4:5], v[4:5], v[8:9]
.LBB16_34:
	s_or_b32 exec_lo, exec_lo, s1
.LBB16_35:
	s_delay_alu instid0(SALU_CYCLE_1) | instskip(NEXT) | instid1(SALU_CYCLE_1)
	s_or_b32 exec_lo, exec_lo, s0
	s_mov_b32 s1, exec_lo
	s_barrier_signal -1
	s_barrier_wait -1
	ds_store_b64 v7, v[4:5]
	s_wait_dscnt 0x0
	s_barrier_signal -1
	s_barrier_wait -1
	v_cmpx_gt_u32_e32 0xff, v0
	s_cbranch_execz .LBB16_38
; %bb.36:
	ds_load_b32 v1, v1 offset:4
	v_cmp_lt_i32_e64 s0, -1, v6
	s_wait_dscnt 0x0
	v_cmp_ne_u32_e32 vcc_lo, v6, v1
	s_and_b32 s0, s0, vcc_lo
	s_delay_alu instid0(SALU_CYCLE_1)
	s_and_b32 exec_lo, exec_lo, s0
	s_cbranch_execz .LBB16_38
; %bb.37:
	v_dual_mov_b32 v7, 0 :: v_dual_mul_f32 v1, v5, -v3
	v_mul_f32_e32 v10, v2, v5
	s_wait_kmcnt 0x0
	s_delay_alu instid0(VALU_DEP_2) | instskip(NEXT) | instid1(VALU_DEP_2)
	v_lshl_add_u64 v[8:9], v[6:7], 3, s[2:3]
	v_dual_fmac_f32 v1, v2, v4 :: v_dual_fmac_f32 v10, v3, v4
	global_atomic_add_f32 v[8:9], v1, off scope:SCOPE_DEV
	s_wait_xcnt 0x0
	global_atomic_add_f32 v[8:9], v10, off offset:4 scope:SCOPE_DEV
.LBB16_38:
	s_wait_xcnt 0x0
	s_or_b32 exec_lo, exec_lo, s1
	v_cmp_eq_u32_e32 vcc_lo, 0xff, v0
	v_cmp_lt_i32_e64 s0, -1, v6
	s_and_b32 s0, vcc_lo, s0
	s_delay_alu instid0(SALU_CYCLE_1)
	s_and_b32 exec_lo, exec_lo, s0
	s_cbranch_execz .LBB16_40
; %bb.39:
	v_dual_mov_b32 v7, 0 :: v_dual_mul_f32 v8, v5, -v3
	v_mul_f32_e32 v5, v2, v5
	s_wait_kmcnt 0x0
	s_delay_alu instid0(VALU_DEP_2) | instskip(NEXT) | instid1(VALU_DEP_2)
	v_lshl_add_u64 v[0:1], v[6:7], 3, s[2:3]
	v_dual_fmac_f32 v8, v2, v4 :: v_dual_fmac_f32 v5, v3, v4
	global_atomic_add_f32 v[0:1], v8, off scope:SCOPE_DEV
	s_wait_xcnt 0x0
	global_atomic_add_f32 v[0:1], v5, off offset:4 scope:SCOPE_DEV
.LBB16_40:
	s_endpgm
	.section	.rodata,"a",@progbits
	.p2align	6, 0x0
	.amdhsa_kernel _ZN9rocsparseL23coomvn_aos_atomic_loopsILj256ELj1Ei21rocsparse_complex_numIfES2_S2_S2_EEvlNS_24const_host_device_scalarIT5_EEPKT1_PKT2_PKT3_PT4_21rocsparse_index_base_b
		.amdhsa_group_segment_fixed_size 3072
		.amdhsa_private_segment_fixed_size 0
		.amdhsa_kernarg_size 56
		.amdhsa_user_sgpr_count 2
		.amdhsa_user_sgpr_dispatch_ptr 0
		.amdhsa_user_sgpr_queue_ptr 0
		.amdhsa_user_sgpr_kernarg_segment_ptr 1
		.amdhsa_user_sgpr_dispatch_id 0
		.amdhsa_user_sgpr_kernarg_preload_length 0
		.amdhsa_user_sgpr_kernarg_preload_offset 0
		.amdhsa_user_sgpr_private_segment_size 0
		.amdhsa_wavefront_size32 1
		.amdhsa_uses_dynamic_stack 0
		.amdhsa_enable_private_segment 0
		.amdhsa_system_sgpr_workgroup_id_x 1
		.amdhsa_system_sgpr_workgroup_id_y 0
		.amdhsa_system_sgpr_workgroup_id_z 0
		.amdhsa_system_sgpr_workgroup_info 0
		.amdhsa_system_vgpr_workitem_id 0
		.amdhsa_next_free_vgpr 12
		.amdhsa_next_free_sgpr 12
		.amdhsa_named_barrier_count 0
		.amdhsa_reserve_vcc 1
		.amdhsa_float_round_mode_32 0
		.amdhsa_float_round_mode_16_64 0
		.amdhsa_float_denorm_mode_32 3
		.amdhsa_float_denorm_mode_16_64 3
		.amdhsa_fp16_overflow 0
		.amdhsa_memory_ordered 1
		.amdhsa_forward_progress 1
		.amdhsa_inst_pref_size 12
		.amdhsa_round_robin_scheduling 0
		.amdhsa_exception_fp_ieee_invalid_op 0
		.amdhsa_exception_fp_denorm_src 0
		.amdhsa_exception_fp_ieee_div_zero 0
		.amdhsa_exception_fp_ieee_overflow 0
		.amdhsa_exception_fp_ieee_underflow 0
		.amdhsa_exception_fp_ieee_inexact 0
		.amdhsa_exception_int_div_zero 0
	.end_amdhsa_kernel
	.section	.text._ZN9rocsparseL23coomvn_aos_atomic_loopsILj256ELj1Ei21rocsparse_complex_numIfES2_S2_S2_EEvlNS_24const_host_device_scalarIT5_EEPKT1_PKT2_PKT3_PT4_21rocsparse_index_base_b,"axG",@progbits,_ZN9rocsparseL23coomvn_aos_atomic_loopsILj256ELj1Ei21rocsparse_complex_numIfES2_S2_S2_EEvlNS_24const_host_device_scalarIT5_EEPKT1_PKT2_PKT3_PT4_21rocsparse_index_base_b,comdat
.Lfunc_end16:
	.size	_ZN9rocsparseL23coomvn_aos_atomic_loopsILj256ELj1Ei21rocsparse_complex_numIfES2_S2_S2_EEvlNS_24const_host_device_scalarIT5_EEPKT1_PKT2_PKT3_PT4_21rocsparse_index_base_b, .Lfunc_end16-_ZN9rocsparseL23coomvn_aos_atomic_loopsILj256ELj1Ei21rocsparse_complex_numIfES2_S2_S2_EEvlNS_24const_host_device_scalarIT5_EEPKT1_PKT2_PKT3_PT4_21rocsparse_index_base_b
                                        ; -- End function
	.set _ZN9rocsparseL23coomvn_aos_atomic_loopsILj256ELj1Ei21rocsparse_complex_numIfES2_S2_S2_EEvlNS_24const_host_device_scalarIT5_EEPKT1_PKT2_PKT3_PT4_21rocsparse_index_base_b.num_vgpr, 12
	.set _ZN9rocsparseL23coomvn_aos_atomic_loopsILj256ELj1Ei21rocsparse_complex_numIfES2_S2_S2_EEvlNS_24const_host_device_scalarIT5_EEPKT1_PKT2_PKT3_PT4_21rocsparse_index_base_b.num_agpr, 0
	.set _ZN9rocsparseL23coomvn_aos_atomic_loopsILj256ELj1Ei21rocsparse_complex_numIfES2_S2_S2_EEvlNS_24const_host_device_scalarIT5_EEPKT1_PKT2_PKT3_PT4_21rocsparse_index_base_b.numbered_sgpr, 12
	.set _ZN9rocsparseL23coomvn_aos_atomic_loopsILj256ELj1Ei21rocsparse_complex_numIfES2_S2_S2_EEvlNS_24const_host_device_scalarIT5_EEPKT1_PKT2_PKT3_PT4_21rocsparse_index_base_b.num_named_barrier, 0
	.set _ZN9rocsparseL23coomvn_aos_atomic_loopsILj256ELj1Ei21rocsparse_complex_numIfES2_S2_S2_EEvlNS_24const_host_device_scalarIT5_EEPKT1_PKT2_PKT3_PT4_21rocsparse_index_base_b.private_seg_size, 0
	.set _ZN9rocsparseL23coomvn_aos_atomic_loopsILj256ELj1Ei21rocsparse_complex_numIfES2_S2_S2_EEvlNS_24const_host_device_scalarIT5_EEPKT1_PKT2_PKT3_PT4_21rocsparse_index_base_b.uses_vcc, 1
	.set _ZN9rocsparseL23coomvn_aos_atomic_loopsILj256ELj1Ei21rocsparse_complex_numIfES2_S2_S2_EEvlNS_24const_host_device_scalarIT5_EEPKT1_PKT2_PKT3_PT4_21rocsparse_index_base_b.uses_flat_scratch, 0
	.set _ZN9rocsparseL23coomvn_aos_atomic_loopsILj256ELj1Ei21rocsparse_complex_numIfES2_S2_S2_EEvlNS_24const_host_device_scalarIT5_EEPKT1_PKT2_PKT3_PT4_21rocsparse_index_base_b.has_dyn_sized_stack, 0
	.set _ZN9rocsparseL23coomvn_aos_atomic_loopsILj256ELj1Ei21rocsparse_complex_numIfES2_S2_S2_EEvlNS_24const_host_device_scalarIT5_EEPKT1_PKT2_PKT3_PT4_21rocsparse_index_base_b.has_recursion, 0
	.set _ZN9rocsparseL23coomvn_aos_atomic_loopsILj256ELj1Ei21rocsparse_complex_numIfES2_S2_S2_EEvlNS_24const_host_device_scalarIT5_EEPKT1_PKT2_PKT3_PT4_21rocsparse_index_base_b.has_indirect_call, 0
	.section	.AMDGPU.csdata,"",@progbits
; Kernel info:
; codeLenInByte = 1468
; TotalNumSgprs: 14
; NumVgprs: 12
; ScratchSize: 0
; MemoryBound: 0
; FloatMode: 240
; IeeeMode: 1
; LDSByteSize: 3072 bytes/workgroup (compile time only)
; SGPRBlocks: 0
; VGPRBlocks: 0
; NumSGPRsForWavesPerEU: 14
; NumVGPRsForWavesPerEU: 12
; NamedBarCnt: 0
; Occupancy: 16
; WaveLimiterHint : 1
; COMPUTE_PGM_RSRC2:SCRATCH_EN: 0
; COMPUTE_PGM_RSRC2:USER_SGPR: 2
; COMPUTE_PGM_RSRC2:TRAP_HANDLER: 0
; COMPUTE_PGM_RSRC2:TGID_X_EN: 1
; COMPUTE_PGM_RSRC2:TGID_Y_EN: 0
; COMPUTE_PGM_RSRC2:TGID_Z_EN: 0
; COMPUTE_PGM_RSRC2:TIDIG_COMP_CNT: 0
	.section	.text._ZN9rocsparseL17coomvt_aos_kernelILj1024Ei21rocsparse_complex_numIfES2_S2_S2_EEv20rocsparse_operation_lNS_24const_host_device_scalarIT4_EEPKT0_PKT1_PKT2_PT3_21rocsparse_index_base_b,"axG",@progbits,_ZN9rocsparseL17coomvt_aos_kernelILj1024Ei21rocsparse_complex_numIfES2_S2_S2_EEv20rocsparse_operation_lNS_24const_host_device_scalarIT4_EEPKT0_PKT1_PKT2_PT3_21rocsparse_index_base_b,comdat
	.globl	_ZN9rocsparseL17coomvt_aos_kernelILj1024Ei21rocsparse_complex_numIfES2_S2_S2_EEv20rocsparse_operation_lNS_24const_host_device_scalarIT4_EEPKT0_PKT1_PKT2_PT3_21rocsparse_index_base_b ; -- Begin function _ZN9rocsparseL17coomvt_aos_kernelILj1024Ei21rocsparse_complex_numIfES2_S2_S2_EEv20rocsparse_operation_lNS_24const_host_device_scalarIT4_EEPKT0_PKT1_PKT2_PT3_21rocsparse_index_base_b
	.p2align	8
	.type	_ZN9rocsparseL17coomvt_aos_kernelILj1024Ei21rocsparse_complex_numIfES2_S2_S2_EEv20rocsparse_operation_lNS_24const_host_device_scalarIT4_EEPKT0_PKT1_PKT2_PT3_21rocsparse_index_base_b,@function
_ZN9rocsparseL17coomvt_aos_kernelILj1024Ei21rocsparse_complex_numIfES2_S2_S2_EEv20rocsparse_operation_lNS_24const_host_device_scalarIT4_EEPKT0_PKT1_PKT2_PT3_21rocsparse_index_base_b: ; @_ZN9rocsparseL17coomvt_aos_kernelILj1024Ei21rocsparse_complex_numIfES2_S2_S2_EEv20rocsparse_operation_lNS_24const_host_device_scalarIT4_EEPKT0_PKT1_PKT2_PT3_21rocsparse_index_base_b
; %bb.0:
	s_clause 0x1
	s_load_b64 s[8:9], s[0:1], 0x38
	s_load_b128 s[4:7], s[0:1], 0x8
	v_mov_b32_e32 v1, 0
	s_add_nc_u64 s[2:3], s[0:1], 16
	s_wait_kmcnt 0x0
	s_bitcmp1_b32 s9, 0
	s_cselect_b32 s3, s3, s7
	s_cselect_b32 s2, s2, s6
	flat_load_b64 v[2:3], v1, s[2:3]
	s_wait_loadcnt_dscnt 0x0
	v_cmp_neq_f32_e32 vcc_lo, 0, v2
	v_cmp_neq_f32_e64 s2, 0, v3
	s_or_b32 s2, vcc_lo, s2
	s_delay_alu instid0(SALU_CYCLE_1)
	s_and_saveexec_b32 s3, s2
	s_cbranch_execz .LBB17_3
; %bb.1:
	s_load_b32 s2, s[0:1], 0x4c
	s_bfe_u32 s3, ttmp6, 0x4000c
	s_and_b32 s6, ttmp6, 15
	s_add_co_i32 s3, s3, 1
	s_getreg_b32 s7, hwreg(HW_REG_IB_STS2, 6, 4)
	s_mul_i32 s3, ttmp9, s3
	s_delay_alu instid0(SALU_CYCLE_1) | instskip(SKIP_4) | instid1(SALU_CYCLE_1)
	s_add_co_i32 s6, s6, s3
	s_wait_kmcnt 0x0
	s_and_b32 s2, s2, 0xffff
	s_cmp_eq_u32 s7, 0
	s_cselect_b32 s3, ttmp9, s6
	v_mad_u32 v0, s3, s2, v0
	s_delay_alu instid0(VALU_DEP_1)
	v_cmp_gt_i64_e32 vcc_lo, s[4:5], v[0:1]
	s_and_b32 exec_lo, exec_lo, vcc_lo
	s_cbranch_execz .LBB17_3
; %bb.2:
	s_load_b256 s[12:19], s[0:1], 0x18
	v_lshlrev_b64_e32 v[0:1], 3, v[0:1]
	s_wait_xcnt 0x0
	s_load_b32 s0, s[0:1], 0x0
	s_wait_kmcnt 0x0
	s_delay_alu instid0(VALU_DEP_1)
	v_add_nc_u64_e32 v[4:5], s[12:13], v[0:1]
	v_add_nc_u64_e32 v[0:1], s[14:15], v[0:1]
	s_cmp_eq_u32 s0, 0x71
	s_cselect_b32 s0, -1, 0
	global_load_b64 v[4:5], v[4:5], off
	global_load_b64 v[0:1], v[0:1], off
	s_wait_loadcnt 0x1
	s_wait_xcnt 0x1
	v_subrev_nc_u32_e32 v4, s8, v4
	s_wait_loadcnt 0x0
	v_cndmask_b32_e64 v1, v1, -v1, s0
	global_load_b64 v[6:7], v4, s[16:17] scale_offset
	v_mul_f32_e32 v8, v2, v1
	s_wait_xcnt 0x0
	v_subrev_nc_u32_e32 v4, s8, v5
	s_delay_alu instid0(VALU_DEP_2) | instskip(NEXT) | instid1(VALU_DEP_1)
	v_dual_fmac_f32 v8, v3, v0 :: v_dual_mul_f32 v9, v1, -v3
	v_fmac_f32_e32 v9, v2, v0
	s_wait_loadcnt 0x0
	s_delay_alu instid0(VALU_DEP_1) | instskip(NEXT) | instid1(VALU_DEP_3)
	v_dual_ashrrev_i32 v5, 31, v4 :: v_dual_mul_f32 v3, v9, v7
	v_mul_f32_e64 v2, v7, -v8
	s_delay_alu instid0(VALU_DEP_2) | instskip(NEXT) | instid1(VALU_DEP_2)
	v_lshl_add_u64 v[0:1], v[4:5], 3, s[18:19]
	v_dual_fmac_f32 v3, v8, v6 :: v_dual_fmac_f32 v2, v9, v6
	global_atomic_add_f32 v[0:1], v2, off scope:SCOPE_DEV
	s_wait_xcnt 0x0
	global_atomic_add_f32 v[0:1], v3, off offset:4 scope:SCOPE_DEV
.LBB17_3:
	s_endpgm
	.section	.rodata,"a",@progbits
	.p2align	6, 0x0
	.amdhsa_kernel _ZN9rocsparseL17coomvt_aos_kernelILj1024Ei21rocsparse_complex_numIfES2_S2_S2_EEv20rocsparse_operation_lNS_24const_host_device_scalarIT4_EEPKT0_PKT1_PKT2_PT3_21rocsparse_index_base_b
		.amdhsa_group_segment_fixed_size 0
		.amdhsa_private_segment_fixed_size 0
		.amdhsa_kernarg_size 320
		.amdhsa_user_sgpr_count 2
		.amdhsa_user_sgpr_dispatch_ptr 0
		.amdhsa_user_sgpr_queue_ptr 0
		.amdhsa_user_sgpr_kernarg_segment_ptr 1
		.amdhsa_user_sgpr_dispatch_id 0
		.amdhsa_user_sgpr_kernarg_preload_length 0
		.amdhsa_user_sgpr_kernarg_preload_offset 0
		.amdhsa_user_sgpr_private_segment_size 0
		.amdhsa_wavefront_size32 1
		.amdhsa_uses_dynamic_stack 0
		.amdhsa_enable_private_segment 0
		.amdhsa_system_sgpr_workgroup_id_x 1
		.amdhsa_system_sgpr_workgroup_id_y 0
		.amdhsa_system_sgpr_workgroup_id_z 0
		.amdhsa_system_sgpr_workgroup_info 0
		.amdhsa_system_vgpr_workitem_id 0
		.amdhsa_next_free_vgpr 10
		.amdhsa_next_free_sgpr 20
		.amdhsa_named_barrier_count 0
		.amdhsa_reserve_vcc 1
		.amdhsa_float_round_mode_32 0
		.amdhsa_float_round_mode_16_64 0
		.amdhsa_float_denorm_mode_32 3
		.amdhsa_float_denorm_mode_16_64 3
		.amdhsa_fp16_overflow 0
		.amdhsa_memory_ordered 1
		.amdhsa_forward_progress 1
		.amdhsa_inst_pref_size 4
		.amdhsa_round_robin_scheduling 0
		.amdhsa_exception_fp_ieee_invalid_op 0
		.amdhsa_exception_fp_denorm_src 0
		.amdhsa_exception_fp_ieee_div_zero 0
		.amdhsa_exception_fp_ieee_overflow 0
		.amdhsa_exception_fp_ieee_underflow 0
		.amdhsa_exception_fp_ieee_inexact 0
		.amdhsa_exception_int_div_zero 0
	.end_amdhsa_kernel
	.section	.text._ZN9rocsparseL17coomvt_aos_kernelILj1024Ei21rocsparse_complex_numIfES2_S2_S2_EEv20rocsparse_operation_lNS_24const_host_device_scalarIT4_EEPKT0_PKT1_PKT2_PT3_21rocsparse_index_base_b,"axG",@progbits,_ZN9rocsparseL17coomvt_aos_kernelILj1024Ei21rocsparse_complex_numIfES2_S2_S2_EEv20rocsparse_operation_lNS_24const_host_device_scalarIT4_EEPKT0_PKT1_PKT2_PT3_21rocsparse_index_base_b,comdat
.Lfunc_end17:
	.size	_ZN9rocsparseL17coomvt_aos_kernelILj1024Ei21rocsparse_complex_numIfES2_S2_S2_EEv20rocsparse_operation_lNS_24const_host_device_scalarIT4_EEPKT0_PKT1_PKT2_PT3_21rocsparse_index_base_b, .Lfunc_end17-_ZN9rocsparseL17coomvt_aos_kernelILj1024Ei21rocsparse_complex_numIfES2_S2_S2_EEv20rocsparse_operation_lNS_24const_host_device_scalarIT4_EEPKT0_PKT1_PKT2_PT3_21rocsparse_index_base_b
                                        ; -- End function
	.set _ZN9rocsparseL17coomvt_aos_kernelILj1024Ei21rocsparse_complex_numIfES2_S2_S2_EEv20rocsparse_operation_lNS_24const_host_device_scalarIT4_EEPKT0_PKT1_PKT2_PT3_21rocsparse_index_base_b.num_vgpr, 10
	.set _ZN9rocsparseL17coomvt_aos_kernelILj1024Ei21rocsparse_complex_numIfES2_S2_S2_EEv20rocsparse_operation_lNS_24const_host_device_scalarIT4_EEPKT0_PKT1_PKT2_PT3_21rocsparse_index_base_b.num_agpr, 0
	.set _ZN9rocsparseL17coomvt_aos_kernelILj1024Ei21rocsparse_complex_numIfES2_S2_S2_EEv20rocsparse_operation_lNS_24const_host_device_scalarIT4_EEPKT0_PKT1_PKT2_PT3_21rocsparse_index_base_b.numbered_sgpr, 20
	.set _ZN9rocsparseL17coomvt_aos_kernelILj1024Ei21rocsparse_complex_numIfES2_S2_S2_EEv20rocsparse_operation_lNS_24const_host_device_scalarIT4_EEPKT0_PKT1_PKT2_PT3_21rocsparse_index_base_b.num_named_barrier, 0
	.set _ZN9rocsparseL17coomvt_aos_kernelILj1024Ei21rocsparse_complex_numIfES2_S2_S2_EEv20rocsparse_operation_lNS_24const_host_device_scalarIT4_EEPKT0_PKT1_PKT2_PT3_21rocsparse_index_base_b.private_seg_size, 0
	.set _ZN9rocsparseL17coomvt_aos_kernelILj1024Ei21rocsparse_complex_numIfES2_S2_S2_EEv20rocsparse_operation_lNS_24const_host_device_scalarIT4_EEPKT0_PKT1_PKT2_PT3_21rocsparse_index_base_b.uses_vcc, 1
	.set _ZN9rocsparseL17coomvt_aos_kernelILj1024Ei21rocsparse_complex_numIfES2_S2_S2_EEv20rocsparse_operation_lNS_24const_host_device_scalarIT4_EEPKT0_PKT1_PKT2_PT3_21rocsparse_index_base_b.uses_flat_scratch, 0
	.set _ZN9rocsparseL17coomvt_aos_kernelILj1024Ei21rocsparse_complex_numIfES2_S2_S2_EEv20rocsparse_operation_lNS_24const_host_device_scalarIT4_EEPKT0_PKT1_PKT2_PT3_21rocsparse_index_base_b.has_dyn_sized_stack, 0
	.set _ZN9rocsparseL17coomvt_aos_kernelILj1024Ei21rocsparse_complex_numIfES2_S2_S2_EEv20rocsparse_operation_lNS_24const_host_device_scalarIT4_EEPKT0_PKT1_PKT2_PT3_21rocsparse_index_base_b.has_recursion, 0
	.set _ZN9rocsparseL17coomvt_aos_kernelILj1024Ei21rocsparse_complex_numIfES2_S2_S2_EEv20rocsparse_operation_lNS_24const_host_device_scalarIT4_EEPKT0_PKT1_PKT2_PT3_21rocsparse_index_base_b.has_indirect_call, 0
	.section	.AMDGPU.csdata,"",@progbits
; Kernel info:
; codeLenInByte = 396
; TotalNumSgprs: 22
; NumVgprs: 10
; ScratchSize: 0
; MemoryBound: 0
; FloatMode: 240
; IeeeMode: 1
; LDSByteSize: 0 bytes/workgroup (compile time only)
; SGPRBlocks: 0
; VGPRBlocks: 0
; NumSGPRsForWavesPerEU: 22
; NumVGPRsForWavesPerEU: 10
; NamedBarCnt: 0
; Occupancy: 16
; WaveLimiterHint : 1
; COMPUTE_PGM_RSRC2:SCRATCH_EN: 0
; COMPUTE_PGM_RSRC2:USER_SGPR: 2
; COMPUTE_PGM_RSRC2:TRAP_HANDLER: 0
; COMPUTE_PGM_RSRC2:TGID_X_EN: 1
; COMPUTE_PGM_RSRC2:TGID_Y_EN: 0
; COMPUTE_PGM_RSRC2:TGID_Z_EN: 0
; COMPUTE_PGM_RSRC2:TIDIG_COMP_CNT: 0
	.section	.text._ZN9rocsparseL26coomvn_aos_segmented_loopsILj256Ei21rocsparse_complex_numIfES2_S2_S2_EEvlT0_NS_24const_host_device_scalarIT4_EEPKS3_PKT1_PKT2_PT3_PS3_PS5_21rocsparse_index_base_b,"axG",@progbits,_ZN9rocsparseL26coomvn_aos_segmented_loopsILj256Ei21rocsparse_complex_numIfES2_S2_S2_EEvlT0_NS_24const_host_device_scalarIT4_EEPKS3_PKT1_PKT2_PT3_PS3_PS5_21rocsparse_index_base_b,comdat
	.globl	_ZN9rocsparseL26coomvn_aos_segmented_loopsILj256Ei21rocsparse_complex_numIfES2_S2_S2_EEvlT0_NS_24const_host_device_scalarIT4_EEPKS3_PKT1_PKT2_PT3_PS3_PS5_21rocsparse_index_base_b ; -- Begin function _ZN9rocsparseL26coomvn_aos_segmented_loopsILj256Ei21rocsparse_complex_numIfES2_S2_S2_EEvlT0_NS_24const_host_device_scalarIT4_EEPKS3_PKT1_PKT2_PT3_PS3_PS5_21rocsparse_index_base_b
	.p2align	8
	.type	_ZN9rocsparseL26coomvn_aos_segmented_loopsILj256Ei21rocsparse_complex_numIfES2_S2_S2_EEvlT0_NS_24const_host_device_scalarIT4_EEPKS3_PKT1_PKT2_PT3_PS3_PS5_21rocsparse_index_base_b,@function
_ZN9rocsparseL26coomvn_aos_segmented_loopsILj256Ei21rocsparse_complex_numIfES2_S2_S2_EEvlT0_NS_24const_host_device_scalarIT4_EEPKS3_PKT1_PKT2_PT3_PS3_PS5_21rocsparse_index_base_b: ; @_ZN9rocsparseL26coomvn_aos_segmented_loopsILj256Ei21rocsparse_complex_numIfES2_S2_S2_EEvlT0_NS_24const_host_device_scalarIT4_EEPKS3_PKT1_PKT2_PT3_PS3_PS5_21rocsparse_index_base_b
; %bb.0:
	s_clause 0x1
	s_load_b64 s[24:25], s[0:1], 0x48
	s_load_b64 s[2:3], s[0:1], 0x10
	v_mov_b32_e32 v7, 0
	s_add_nc_u64 s[4:5], s[0:1], 16
	s_wait_kmcnt 0x0
	s_bitcmp1_b32 s25, 0
	s_cselect_b32 s3, s5, s3
	s_cselect_b32 s2, s4, s2
	flat_load_b64 v[2:3], v7, s[2:3]
	s_wait_loadcnt_dscnt 0x0
	v_cmp_neq_f32_e32 vcc_lo, 0, v2
	v_cmp_neq_f32_e64 s2, 0, v3
	s_or_b32 s2, vcc_lo, s2
	s_delay_alu instid0(SALU_CYCLE_1)
	s_and_saveexec_b32 s3, s2
	s_cbranch_execz .LBB18_87
; %bb.1:
	s_clause 0x2
	s_load_b96 s[20:22], s[0:1], 0x0
	s_load_b128 s[16:19], s[0:1], 0x18
	s_load_b64 s[28:29], s[0:1], 0x28
	s_bfe_u32 s2, ttmp6, 0x4000c
	s_and_b32 s3, ttmp6, 15
	s_add_co_i32 s2, s2, 1
	s_getreg_b32 s4, hwreg(HW_REG_IB_STS2, 6, 4)
	s_mul_i32 s2, ttmp9, s2
	v_mov_b64_e32 v[4:5], 0
	s_add_co_i32 s3, s3, s2
	s_cmp_eq_u32 s4, 0
	v_mov_b32_e32 v15, -1
	s_cselect_b32 s23, ttmp9, s3
	s_wait_kmcnt 0x0
	s_mul_i32 s2, s23, s22
	s_delay_alu instid0(SALU_CYCLE_1) | instskip(SKIP_1) | instid1(VALU_DEP_1)
	v_lshl_or_b32 v6, s2, 8, v0
	s_mov_b32 s2, exec_lo
	v_cmpx_gt_i64_e64 s[20:21], v[6:7]
	s_cbranch_execz .LBB18_3
; %bb.2:
	v_lshlrev_b64_e32 v[4:5], 3, v[6:7]
	s_ashr_i32 s25, s24, 31
	s_delay_alu instid0(SALU_CYCLE_1) | instskip(NEXT) | instid1(VALU_DEP_1)
	s_lshl_b64 s[4:5], s[24:25], 3
	v_add_nc_u64_e32 v[8:9], s[16:17], v[4:5]
	v_add_nc_u64_e32 v[4:5], s[18:19], v[4:5]
	global_load_b64 v[8:9], v[8:9], off th:TH_LOAD_NT
	s_wait_loadcnt 0x0
	v_dual_mov_b32 v10, v9 :: v_dual_ashrrev_i32 v11, 31, v9
	v_subrev_nc_u32_e32 v15, s24, v8
	s_delay_alu instid0(VALU_DEP_2) | instskip(NEXT) | instid1(VALU_DEP_1)
	v_lshl_add_u64 v[10:11], v[10:11], 3, s[28:29]
	v_sub_nc_u64_e64 v[10:11], v[10:11], s[4:5]
	global_load_b64 v[12:13], v[10:11], off
	global_load_b64 v[16:17], v[4:5], off th:TH_LOAD_NT
	s_wait_loadcnt 0x0
	v_pk_mul_f32 v[4:5], v[12:13], v[16:17] op_sel:[1,1] op_sel_hi:[1,0] neg_lo:[0,1]
	s_delay_alu instid0(VALU_DEP_1)
	v_pk_fma_f32 v[4:5], v[16:17], v[12:13], v[4:5] op_sel_hi:[1,0,1]
.LBB18_3:
	s_or_b32 exec_lo, exec_lo, s2
	v_dual_lshlrev_b32 v8, 2, v0 :: v_dual_lshlrev_b32 v1, 3, v0
	v_cmp_eq_u32_e64 s2, 0, v0
	v_cmp_ne_u32_e64 s3, 0, v0
	ds_store_b32 v8, v15 offset:2048
	ds_store_b64 v1, v[4:5]
	v_or_b32_e32 v14, 0x800, v8
	s_wait_dscnt 0x0
	s_barrier_signal -1
	s_barrier_wait -1
	s_delay_alu instid0(VALU_DEP_1)
	v_add_nc_u32_e32 v16, -4, v14
	s_and_saveexec_b32 s4, s3
	s_cbranch_execz .LBB18_7
; %bb.4:
	ds_load_b32 v8, v16
	s_mov_b32 s5, exec_lo
	s_wait_dscnt 0x0
	v_cmpx_eq_u32_e64 v15, v8
	s_cbranch_execz .LBB18_6
; %bb.5:
	v_add_nc_u32_e32 v8, -8, v1
	ds_load_b64 v[8:9], v8
	s_wait_dscnt 0x0
	v_pk_add_f32 v[4:5], v[4:5], v[8:9]
.LBB18_6:
	s_or_b32 exec_lo, exec_lo, s5
.LBB18_7:
	s_delay_alu instid0(SALU_CYCLE_1)
	s_or_b32 exec_lo, exec_lo, s4
	v_cmp_lt_u32_e64 s4, 1, v0
	v_add_nc_u32_e32 v17, -8, v14
	s_barrier_signal -1
	s_barrier_wait -1
	ds_store_b64 v1, v[4:5]
	s_wait_dscnt 0x0
	s_barrier_signal -1
	s_barrier_wait -1
	s_and_saveexec_b32 s5, s4
	s_cbranch_execz .LBB18_11
; %bb.8:
	ds_load_b32 v8, v17
	s_mov_b32 s6, exec_lo
	s_wait_dscnt 0x0
	v_cmpx_eq_u32_e64 v15, v8
	s_cbranch_execz .LBB18_10
; %bb.9:
	v_add_nc_u32_e32 v8, -16, v1
	ds_load_b64 v[8:9], v8
	s_wait_dscnt 0x0
	v_pk_add_f32 v[4:5], v[4:5], v[8:9]
.LBB18_10:
	s_or_b32 exec_lo, exec_lo, s6
.LBB18_11:
	s_delay_alu instid0(SALU_CYCLE_1)
	s_or_b32 exec_lo, exec_lo, s5
	v_cmp_lt_u32_e64 s5, 3, v0
	v_add_nc_u32_e32 v18, -16, v14
	s_barrier_signal -1
	s_barrier_wait -1
	ds_store_b64 v1, v[4:5]
	s_wait_dscnt 0x0
	s_barrier_signal -1
	s_barrier_wait -1
	s_and_saveexec_b32 s6, s5
	s_cbranch_execz .LBB18_15
; %bb.12:
	ds_load_b32 v8, v18
	s_mov_b32 s7, exec_lo
	s_wait_dscnt 0x0
	v_cmpx_eq_u32_e64 v15, v8
	s_cbranch_execz .LBB18_14
; %bb.13:
	v_subrev_nc_u32_e32 v8, 32, v1
	ds_load_b64 v[8:9], v8
	s_wait_dscnt 0x0
	v_pk_add_f32 v[4:5], v[4:5], v[8:9]
.LBB18_14:
	s_or_b32 exec_lo, exec_lo, s7
.LBB18_15:
	s_delay_alu instid0(SALU_CYCLE_1)
	s_or_b32 exec_lo, exec_lo, s6
	v_cmp_lt_u32_e64 s6, 7, v0
	v_subrev_nc_u32_e32 v19, 32, v14
	s_barrier_signal -1
	s_barrier_wait -1
	ds_store_b64 v1, v[4:5]
	s_wait_dscnt 0x0
	s_barrier_signal -1
	s_barrier_wait -1
	s_and_saveexec_b32 s7, s6
	s_cbranch_execz .LBB18_19
; %bb.16:
	ds_load_b32 v8, v19
	s_mov_b32 s8, exec_lo
	s_wait_dscnt 0x0
	v_cmpx_eq_u32_e64 v15, v8
	s_cbranch_execz .LBB18_18
; %bb.17:
	v_subrev_nc_u32_e32 v8, 64, v1
	ds_load_b64 v[8:9], v8
	s_wait_dscnt 0x0
	v_pk_add_f32 v[4:5], v[4:5], v[8:9]
.LBB18_18:
	s_or_b32 exec_lo, exec_lo, s8
.LBB18_19:
	s_delay_alu instid0(SALU_CYCLE_1)
	s_or_b32 exec_lo, exec_lo, s7
	v_cmp_lt_u32_e64 s7, 15, v0
	v_subrev_nc_u32_e32 v20, 64, v14
	s_barrier_signal -1
	s_barrier_wait -1
	ds_store_b64 v1, v[4:5]
	s_wait_dscnt 0x0
	s_barrier_signal -1
	s_barrier_wait -1
	s_and_saveexec_b32 s8, s7
	s_cbranch_execz .LBB18_23
; %bb.20:
	ds_load_b32 v8, v20
	s_mov_b32 s9, exec_lo
	s_wait_dscnt 0x0
	v_cmpx_eq_u32_e64 v15, v8
	s_cbranch_execz .LBB18_22
; %bb.21:
	v_add_nc_u32_e32 v8, 0xffffff80, v1
	ds_load_b64 v[8:9], v8
	s_wait_dscnt 0x0
	v_pk_add_f32 v[4:5], v[4:5], v[8:9]
.LBB18_22:
	s_or_b32 exec_lo, exec_lo, s9
.LBB18_23:
	s_delay_alu instid0(SALU_CYCLE_1)
	s_or_b32 exec_lo, exec_lo, s8
	v_cmp_lt_u32_e64 s8, 31, v0
	v_add_nc_u32_e32 v21, 0xffffff80, v14
	s_barrier_signal -1
	s_barrier_wait -1
	ds_store_b64 v1, v[4:5]
	s_wait_dscnt 0x0
	s_barrier_signal -1
	s_barrier_wait -1
	s_and_saveexec_b32 s9, s8
	s_cbranch_execz .LBB18_27
; %bb.24:
	ds_load_b32 v8, v21
	s_mov_b32 s10, exec_lo
	s_wait_dscnt 0x0
	v_cmpx_eq_u32_e64 v15, v8
	s_cbranch_execz .LBB18_26
; %bb.25:
	v_add_nc_u32_e32 v8, 0xffffff00, v1
	ds_load_b64 v[8:9], v8
	s_wait_dscnt 0x0
	v_pk_add_f32 v[4:5], v[4:5], v[8:9]
.LBB18_26:
	s_or_b32 exec_lo, exec_lo, s10
.LBB18_27:
	s_delay_alu instid0(SALU_CYCLE_1)
	s_or_b32 exec_lo, exec_lo, s9
	v_cmp_lt_u32_e64 s9, 63, v0
	v_add_nc_u32_e32 v22, 0xffffff00, v14
	s_barrier_signal -1
	s_barrier_wait -1
	ds_store_b64 v1, v[4:5]
	s_wait_dscnt 0x0
	s_barrier_signal -1
	s_barrier_wait -1
	s_and_saveexec_b32 s10, s9
	s_cbranch_execz .LBB18_31
; %bb.28:
	ds_load_b32 v8, v22
	s_mov_b32 s11, exec_lo
	s_wait_dscnt 0x0
	v_cmpx_eq_u32_e64 v15, v8
	s_cbranch_execz .LBB18_30
; %bb.29:
	v_add_nc_u32_e32 v8, 0xfffffe00, v1
	ds_load_b64 v[8:9], v8
	s_wait_dscnt 0x0
	v_pk_add_f32 v[4:5], v[4:5], v[8:9]
.LBB18_30:
	s_or_b32 exec_lo, exec_lo, s11
.LBB18_31:
	s_delay_alu instid0(SALU_CYCLE_1)
	s_or_b32 exec_lo, exec_lo, s10
	s_load_b64 s[26:27], s[0:1], 0x30
	v_cmp_lt_u32_e64 s10, 0x7f, v0
	v_add_nc_u32_e32 v23, 0xfffffe00, v14
	s_barrier_signal -1
	s_barrier_wait -1
	ds_store_b64 v1, v[4:5]
	s_wait_dscnt 0x0
	s_barrier_signal -1
	s_barrier_wait -1
	s_and_saveexec_b32 s11, s10
	s_cbranch_execz .LBB18_35
; %bb.32:
	ds_load_b32 v8, v23
	s_mov_b32 s12, exec_lo
	s_wait_dscnt 0x0
	v_cmpx_eq_u32_e64 v15, v8
	s_cbranch_execz .LBB18_34
; %bb.33:
	v_add_nc_u32_e32 v8, 0xfffffc00, v1
	ds_load_b64 v[8:9], v8
	s_wait_dscnt 0x0
	v_pk_add_f32 v[4:5], v[4:5], v[8:9]
.LBB18_34:
	s_or_b32 exec_lo, exec_lo, s12
.LBB18_35:
	s_delay_alu instid0(SALU_CYCLE_1)
	s_or_b32 exec_lo, exec_lo, s11
	v_cmp_gt_u32_e64 s11, 0xff, v0
	s_barrier_signal -1
	s_barrier_wait -1
	ds_store_b64 v1, v[4:5]
	s_wait_dscnt 0x0
	s_barrier_signal -1
	s_barrier_wait -1
	s_and_saveexec_b32 s13, s11
	s_cbranch_execz .LBB18_38
; %bb.36:
	ds_load_b32 v8, v14 offset:4
	v_cmp_lt_i32_e64 s12, -1, v15
	s_wait_dscnt 0x0
	v_cmp_ne_u32_e32 vcc_lo, v15, v8
	s_and_b32 s12, s12, vcc_lo
	s_delay_alu instid0(SALU_CYCLE_1)
	s_and_b32 exec_lo, exec_lo, s12
	s_cbranch_execz .LBB18_38
; %bb.37:
	s_wait_kmcnt 0x0
	global_load_b64 v[8:9], v15, s[26:27] scale_offset
	v_xor_b32_e32 v10, 0x80000000, v3
	v_mov_b32_e32 v11, v2
	s_wait_loadcnt 0x0
	v_pk_fma_f32 v[8:9], v[2:3], v[4:5], v[8:9] op_sel_hi:[1,0,1]
	s_delay_alu instid0(VALU_DEP_1)
	v_pk_fma_f32 v[8:9], v[10:11], v[4:5], v[8:9] op_sel:[0,1,0]
	global_store_b64 v15, v[8:9], s[26:27] scale_offset
.LBB18_38:
	s_wait_xcnt 0x0
	s_or_b32 exec_lo, exec_lo, s13
	s_load_b128 s[12:15], s[0:1], 0x38
	v_xor_b32_e32 v8, 0x80000000, v3
	s_cmp_lt_i32 s22, 2
	s_cbranch_scc1 .LBB18_85
; %bb.39:
	v_lshl_add_u64 v[4:5], v[6:7], 3, 0x800
	v_add_nc_u64_e32 v[6:7], 0x100, v[6:7]
	s_ashr_i32 s25, s24, 31
	v_dual_add_nc_u32 v24, -8, v1 :: v_dual_add_nc_u32 v25, -16, v1
	s_delay_alu instid0(VALU_DEP_3)
	v_add_nc_u64_e32 v[10:11], s[18:19], v[4:5]
	v_add_nc_u64_e32 v[12:13], s[16:17], v[4:5]
	v_subrev_nc_u32_e32 v26, 32, v1
	v_subrev_nc_u32_e32 v27, 64, v1
	v_dual_mov_b32 v9, v2 :: v_dual_add_nc_u32 v28, 0xffffff80, v1
	v_dual_mov_b32 v32, 0 :: v_dual_add_nc_u32 v29, 0xffffff00, v1
	v_add_nc_u32_e32 v30, 0xfffffe00, v1
	v_add_nc_u32_e32 v31, 0xfffffc00, v1
	s_wait_xcnt 0x0
	s_lshl_b64 s[0:1], s[24:25], 3
	s_delay_alu instid0(SALU_CYCLE_1)
	s_sub_nc_u64 s[16:17], s[28:29], s[0:1]
	s_add_co_i32 s1, s22, -1
	s_branch .LBB18_41
.LBB18_40:                              ;   in Loop: Header=BB18_41 Depth=1
	s_wait_xcnt 0x0
	s_or_b32 exec_lo, exec_lo, s18
	v_add_nc_u64_e32 v[10:11], 0x800, v[10:11]
	v_add_nc_u64_e32 v[12:13], 0x800, v[12:13]
	;; [unrolled: 1-line block ×3, first 2 shown]
	s_add_co_i32 s1, s1, -1
	s_delay_alu instid0(SALU_CYCLE_1)
	s_cmp_eq_u32 s1, 0
	s_cbranch_scc1 .LBB18_85
.LBB18_41:                              ; =>This Inner Loop Header: Depth=1
	v_mov_b64_e32 v[4:5], 0
	v_mov_b32_e32 v15, -1
	s_mov_b32 s0, exec_lo
	v_cmpx_gt_i64_e64 s[20:21], v[6:7]
	s_cbranch_execz .LBB18_43
; %bb.42:                               ;   in Loop: Header=BB18_41 Depth=1
	global_load_b64 v[4:5], v[12:13], off th:TH_LOAD_NT
	s_wait_loadcnt 0x0
	global_load_b64 v[34:35], v5, s[16:17] scale_offset
	global_load_b64 v[36:37], v[10:11], off th:TH_LOAD_NT
	v_subrev_nc_u32_e32 v15, s24, v4
	s_wait_loadcnt 0x0
	v_pk_mul_f32 v[38:39], v[34:35], v[36:37] op_sel:[1,1] op_sel_hi:[1,0] neg_lo:[0,1]
	s_wait_xcnt 0x1
	s_delay_alu instid0(VALU_DEP_1)
	v_pk_fma_f32 v[4:5], v[36:37], v[34:35], v[38:39] op_sel_hi:[1,0,1]
.LBB18_43:                              ;   in Loop: Header=BB18_41 Depth=1
	s_wait_xcnt 0x0
	s_or_b32 exec_lo, exec_lo, s0
	s_and_saveexec_b32 s0, s2
	s_cbranch_execz .LBB18_50
; %bb.44:                               ;   in Loop: Header=BB18_41 Depth=1
	ds_load_b32 v33, v32 offset:3068
	s_mov_b32 s18, exec_lo
	s_wait_dscnt 0x0
	v_cmpx_ne_u32_e64 v15, v33
	s_xor_b32 s18, exec_lo, s18
	s_cbranch_execz .LBB18_47
; %bb.45:                               ;   in Loop: Header=BB18_41 Depth=1
	v_cmp_gt_i32_e32 vcc_lo, 0, v33
	s_cbranch_vccnz .LBB18_47
; %bb.46:                               ;   in Loop: Header=BB18_41 Depth=1
	s_wait_kmcnt 0x0
	global_load_b64 v[34:35], v33, s[26:27] scale_offset
	ds_load_b64 v[36:37], v32 offset:2040
	s_wait_loadcnt_dscnt 0x0
	v_pk_fma_f32 v[34:35], v[2:3], v[36:37], v[34:35] op_sel_hi:[1,0,1]
	s_delay_alu instid0(VALU_DEP_1)
	v_pk_fma_f32 v[34:35], v[8:9], v[36:37], v[34:35] op_sel:[0,1,0]
	global_store_b64 v33, v[34:35], s[26:27] scale_offset
.LBB18_47:                              ;   in Loop: Header=BB18_41 Depth=1
	s_wait_xcnt 0x0
	s_and_not1_saveexec_b32 s18, s18
	s_cbranch_execz .LBB18_49
; %bb.48:                               ;   in Loop: Header=BB18_41 Depth=1
	ds_load_b64 v[34:35], v32 offset:2040
	s_wait_dscnt 0x0
	v_pk_add_f32 v[4:5], v[4:5], v[34:35]
.LBB18_49:                              ;   in Loop: Header=BB18_41 Depth=1
	s_or_b32 exec_lo, exec_lo, s18
.LBB18_50:                              ;   in Loop: Header=BB18_41 Depth=1
	s_delay_alu instid0(SALU_CYCLE_1)
	s_or_b32 exec_lo, exec_lo, s0
	s_wait_storecnt 0x0
	s_barrier_signal -1
	s_barrier_wait -1
	ds_store_b32 v14, v15
	ds_store_b64 v1, v[4:5]
	s_wait_dscnt 0x0
	s_barrier_signal -1
	s_barrier_wait -1
	s_and_saveexec_b32 s0, s3
	s_cbranch_execz .LBB18_54
; %bb.51:                               ;   in Loop: Header=BB18_41 Depth=1
	ds_load_b32 v33, v16
	s_mov_b32 s18, exec_lo
	s_wait_dscnt 0x0
	v_cmpx_eq_u32_e64 v15, v33
	s_cbranch_execz .LBB18_53
; %bb.52:                               ;   in Loop: Header=BB18_41 Depth=1
	ds_load_b64 v[34:35], v24
	s_wait_dscnt 0x0
	v_pk_add_f32 v[4:5], v[4:5], v[34:35]
.LBB18_53:                              ;   in Loop: Header=BB18_41 Depth=1
	s_or_b32 exec_lo, exec_lo, s18
.LBB18_54:                              ;   in Loop: Header=BB18_41 Depth=1
	s_delay_alu instid0(SALU_CYCLE_1)
	s_or_b32 exec_lo, exec_lo, s0
	s_barrier_signal -1
	s_barrier_wait -1
	ds_store_b64 v1, v[4:5]
	s_wait_dscnt 0x0
	s_barrier_signal -1
	s_barrier_wait -1
	s_and_saveexec_b32 s0, s4
	s_cbranch_execz .LBB18_58
; %bb.55:                               ;   in Loop: Header=BB18_41 Depth=1
	ds_load_b32 v33, v17
	s_mov_b32 s18, exec_lo
	s_wait_dscnt 0x0
	v_cmpx_eq_u32_e64 v15, v33
	s_cbranch_execz .LBB18_57
; %bb.56:                               ;   in Loop: Header=BB18_41 Depth=1
	ds_load_b64 v[34:35], v25
	s_wait_dscnt 0x0
	v_pk_add_f32 v[4:5], v[4:5], v[34:35]
.LBB18_57:                              ;   in Loop: Header=BB18_41 Depth=1
	s_or_b32 exec_lo, exec_lo, s18
.LBB18_58:                              ;   in Loop: Header=BB18_41 Depth=1
	s_delay_alu instid0(SALU_CYCLE_1)
	s_or_b32 exec_lo, exec_lo, s0
	s_barrier_signal -1
	s_barrier_wait -1
	;; [unrolled: 23-line block ×8, first 2 shown]
	ds_store_b64 v1, v[4:5]
	s_wait_dscnt 0x0
	s_barrier_signal -1
	s_barrier_wait -1
	s_and_saveexec_b32 s18, s11
	s_cbranch_execz .LBB18_40
; %bb.83:                               ;   in Loop: Header=BB18_41 Depth=1
	ds_load_b32 v33, v14 offset:4
	v_cmp_lt_i32_e64 s0, -1, v15
	s_wait_dscnt 0x0
	v_cmp_ne_u32_e32 vcc_lo, v15, v33
	s_and_b32 s0, s0, vcc_lo
	s_delay_alu instid0(SALU_CYCLE_1)
	s_and_b32 exec_lo, exec_lo, s0
	s_cbranch_execz .LBB18_40
; %bb.84:                               ;   in Loop: Header=BB18_41 Depth=1
	s_wait_kmcnt 0x0
	global_load_b64 v[34:35], v15, s[26:27] scale_offset
	s_wait_loadcnt 0x0
	v_pk_fma_f32 v[34:35], v[2:3], v[4:5], v[34:35] op_sel_hi:[1,0,1]
	s_delay_alu instid0(VALU_DEP_1)
	v_pk_fma_f32 v[34:35], v[8:9], v[4:5], v[34:35] op_sel:[0,1,0]
	global_store_b64 v15, v[34:35], s[26:27] scale_offset
	s_branch .LBB18_40
.LBB18_85:
	v_cmp_eq_u32_e32 vcc_lo, 0xff, v0
	s_and_b32 exec_lo, exec_lo, vcc_lo
	s_cbranch_execz .LBB18_87
; %bb.86:
	v_dual_mov_b32 v9, v2 :: v_dual_mov_b32 v6, s23
	s_delay_alu instid0(VALU_DEP_1) | instskip(NEXT) | instid1(VALU_DEP_1)
	v_pk_mul_f32 v[0:1], v[4:5], v[8:9] op_sel:[1,0]
	v_pk_fma_f32 v[0:1], v[2:3], v[4:5], v[0:1] op_sel_hi:[1,0,1]
	s_wait_kmcnt 0x0
	s_clause 0x1
	global_store_b32 v6, v15, s[12:13] scale_offset th:TH_STORE_NT
	global_store_b64 v6, v[0:1], s[14:15] scale_offset th:TH_STORE_NT
.LBB18_87:
	s_endpgm
	.section	.rodata,"a",@progbits
	.p2align	6, 0x0
	.amdhsa_kernel _ZN9rocsparseL26coomvn_aos_segmented_loopsILj256Ei21rocsparse_complex_numIfES2_S2_S2_EEvlT0_NS_24const_host_device_scalarIT4_EEPKS3_PKT1_PKT2_PT3_PS3_PS5_21rocsparse_index_base_b
		.amdhsa_group_segment_fixed_size 3072
		.amdhsa_private_segment_fixed_size 0
		.amdhsa_kernarg_size 80
		.amdhsa_user_sgpr_count 2
		.amdhsa_user_sgpr_dispatch_ptr 0
		.amdhsa_user_sgpr_queue_ptr 0
		.amdhsa_user_sgpr_kernarg_segment_ptr 1
		.amdhsa_user_sgpr_dispatch_id 0
		.amdhsa_user_sgpr_kernarg_preload_length 0
		.amdhsa_user_sgpr_kernarg_preload_offset 0
		.amdhsa_user_sgpr_private_segment_size 0
		.amdhsa_wavefront_size32 1
		.amdhsa_uses_dynamic_stack 0
		.amdhsa_enable_private_segment 0
		.amdhsa_system_sgpr_workgroup_id_x 1
		.amdhsa_system_sgpr_workgroup_id_y 0
		.amdhsa_system_sgpr_workgroup_id_z 0
		.amdhsa_system_sgpr_workgroup_info 0
		.amdhsa_system_vgpr_workitem_id 0
		.amdhsa_next_free_vgpr 40
		.amdhsa_next_free_sgpr 30
		.amdhsa_named_barrier_count 0
		.amdhsa_reserve_vcc 1
		.amdhsa_float_round_mode_32 0
		.amdhsa_float_round_mode_16_64 0
		.amdhsa_float_denorm_mode_32 3
		.amdhsa_float_denorm_mode_16_64 3
		.amdhsa_fp16_overflow 0
		.amdhsa_memory_ordered 1
		.amdhsa_forward_progress 1
		.amdhsa_inst_pref_size 23
		.amdhsa_round_robin_scheduling 0
		.amdhsa_exception_fp_ieee_invalid_op 0
		.amdhsa_exception_fp_denorm_src 0
		.amdhsa_exception_fp_ieee_div_zero 0
		.amdhsa_exception_fp_ieee_overflow 0
		.amdhsa_exception_fp_ieee_underflow 0
		.amdhsa_exception_fp_ieee_inexact 0
		.amdhsa_exception_int_div_zero 0
	.end_amdhsa_kernel
	.section	.text._ZN9rocsparseL26coomvn_aos_segmented_loopsILj256Ei21rocsparse_complex_numIfES2_S2_S2_EEvlT0_NS_24const_host_device_scalarIT4_EEPKS3_PKT1_PKT2_PT3_PS3_PS5_21rocsparse_index_base_b,"axG",@progbits,_ZN9rocsparseL26coomvn_aos_segmented_loopsILj256Ei21rocsparse_complex_numIfES2_S2_S2_EEvlT0_NS_24const_host_device_scalarIT4_EEPKS3_PKT1_PKT2_PT3_PS3_PS5_21rocsparse_index_base_b,comdat
.Lfunc_end18:
	.size	_ZN9rocsparseL26coomvn_aos_segmented_loopsILj256Ei21rocsparse_complex_numIfES2_S2_S2_EEvlT0_NS_24const_host_device_scalarIT4_EEPKS3_PKT1_PKT2_PT3_PS3_PS5_21rocsparse_index_base_b, .Lfunc_end18-_ZN9rocsparseL26coomvn_aos_segmented_loopsILj256Ei21rocsparse_complex_numIfES2_S2_S2_EEvlT0_NS_24const_host_device_scalarIT4_EEPKS3_PKT1_PKT2_PT3_PS3_PS5_21rocsparse_index_base_b
                                        ; -- End function
	.set _ZN9rocsparseL26coomvn_aos_segmented_loopsILj256Ei21rocsparse_complex_numIfES2_S2_S2_EEvlT0_NS_24const_host_device_scalarIT4_EEPKS3_PKT1_PKT2_PT3_PS3_PS5_21rocsparse_index_base_b.num_vgpr, 40
	.set _ZN9rocsparseL26coomvn_aos_segmented_loopsILj256Ei21rocsparse_complex_numIfES2_S2_S2_EEvlT0_NS_24const_host_device_scalarIT4_EEPKS3_PKT1_PKT2_PT3_PS3_PS5_21rocsparse_index_base_b.num_agpr, 0
	.set _ZN9rocsparseL26coomvn_aos_segmented_loopsILj256Ei21rocsparse_complex_numIfES2_S2_S2_EEvlT0_NS_24const_host_device_scalarIT4_EEPKS3_PKT1_PKT2_PT3_PS3_PS5_21rocsparse_index_base_b.numbered_sgpr, 30
	.set _ZN9rocsparseL26coomvn_aos_segmented_loopsILj256Ei21rocsparse_complex_numIfES2_S2_S2_EEvlT0_NS_24const_host_device_scalarIT4_EEPKS3_PKT1_PKT2_PT3_PS3_PS5_21rocsparse_index_base_b.num_named_barrier, 0
	.set _ZN9rocsparseL26coomvn_aos_segmented_loopsILj256Ei21rocsparse_complex_numIfES2_S2_S2_EEvlT0_NS_24const_host_device_scalarIT4_EEPKS3_PKT1_PKT2_PT3_PS3_PS5_21rocsparse_index_base_b.private_seg_size, 0
	.set _ZN9rocsparseL26coomvn_aos_segmented_loopsILj256Ei21rocsparse_complex_numIfES2_S2_S2_EEvlT0_NS_24const_host_device_scalarIT4_EEPKS3_PKT1_PKT2_PT3_PS3_PS5_21rocsparse_index_base_b.uses_vcc, 1
	.set _ZN9rocsparseL26coomvn_aos_segmented_loopsILj256Ei21rocsparse_complex_numIfES2_S2_S2_EEvlT0_NS_24const_host_device_scalarIT4_EEPKS3_PKT1_PKT2_PT3_PS3_PS5_21rocsparse_index_base_b.uses_flat_scratch, 0
	.set _ZN9rocsparseL26coomvn_aos_segmented_loopsILj256Ei21rocsparse_complex_numIfES2_S2_S2_EEvlT0_NS_24const_host_device_scalarIT4_EEPKS3_PKT1_PKT2_PT3_PS3_PS5_21rocsparse_index_base_b.has_dyn_sized_stack, 0
	.set _ZN9rocsparseL26coomvn_aos_segmented_loopsILj256Ei21rocsparse_complex_numIfES2_S2_S2_EEvlT0_NS_24const_host_device_scalarIT4_EEPKS3_PKT1_PKT2_PT3_PS3_PS5_21rocsparse_index_base_b.has_recursion, 0
	.set _ZN9rocsparseL26coomvn_aos_segmented_loopsILj256Ei21rocsparse_complex_numIfES2_S2_S2_EEvlT0_NS_24const_host_device_scalarIT4_EEPKS3_PKT1_PKT2_PT3_PS3_PS5_21rocsparse_index_base_b.has_indirect_call, 0
	.section	.AMDGPU.csdata,"",@progbits
; Kernel info:
; codeLenInByte = 2888
; TotalNumSgprs: 32
; NumVgprs: 40
; ScratchSize: 0
; MemoryBound: 0
; FloatMode: 240
; IeeeMode: 1
; LDSByteSize: 3072 bytes/workgroup (compile time only)
; SGPRBlocks: 0
; VGPRBlocks: 2
; NumSGPRsForWavesPerEU: 32
; NumVGPRsForWavesPerEU: 40
; NamedBarCnt: 0
; Occupancy: 16
; WaveLimiterHint : 1
; COMPUTE_PGM_RSRC2:SCRATCH_EN: 0
; COMPUTE_PGM_RSRC2:USER_SGPR: 2
; COMPUTE_PGM_RSRC2:TRAP_HANDLER: 0
; COMPUTE_PGM_RSRC2:TGID_X_EN: 1
; COMPUTE_PGM_RSRC2:TGID_Y_EN: 0
; COMPUTE_PGM_RSRC2:TGID_Z_EN: 0
; COMPUTE_PGM_RSRC2:TIDIG_COMP_CNT: 0
	.section	.text._ZN9rocsparseL29coomvn_segmented_loops_reduceILj256Ei21rocsparse_complex_numIfES2_EEvT0_NS_24const_host_device_scalarIT2_EEPKS3_PKS5_PT1_b,"axG",@progbits,_ZN9rocsparseL29coomvn_segmented_loops_reduceILj256Ei21rocsparse_complex_numIfES2_EEvT0_NS_24const_host_device_scalarIT2_EEPKS3_PKS5_PT1_b,comdat
	.globl	_ZN9rocsparseL29coomvn_segmented_loops_reduceILj256Ei21rocsparse_complex_numIfES2_EEvT0_NS_24const_host_device_scalarIT2_EEPKS3_PKS5_PT1_b ; -- Begin function _ZN9rocsparseL29coomvn_segmented_loops_reduceILj256Ei21rocsparse_complex_numIfES2_EEvT0_NS_24const_host_device_scalarIT2_EEPKS3_PKS5_PT1_b
	.p2align	8
	.type	_ZN9rocsparseL29coomvn_segmented_loops_reduceILj256Ei21rocsparse_complex_numIfES2_EEvT0_NS_24const_host_device_scalarIT2_EEPKS3_PKS5_PT1_b,@function
_ZN9rocsparseL29coomvn_segmented_loops_reduceILj256Ei21rocsparse_complex_numIfES2_EEvT0_NS_24const_host_device_scalarIT2_EEPKS3_PKS5_PT1_b: ; @_ZN9rocsparseL29coomvn_segmented_loops_reduceILj256Ei21rocsparse_complex_numIfES2_EEvT0_NS_24const_host_device_scalarIT2_EEPKS3_PKS5_PT1_b
; %bb.0:
	s_clause 0x1
	s_load_b32 s6, s[0:1], 0x28
	s_load_b64 s[2:3], s[0:1], 0x8
	v_mov_b32_e32 v1, 0
	s_add_nc_u64 s[4:5], s[0:1], 8
	s_wait_kmcnt 0x0
	s_bitcmp1_b32 s6, 0
	s_cselect_b32 s3, s5, s3
	s_cselect_b32 s2, s4, s2
	flat_load_b64 v[2:3], v1, s[2:3]
	s_wait_loadcnt_dscnt 0x0
	v_cmp_neq_f32_e32 vcc_lo, 0, v2
	v_cmp_neq_f32_e64 s2, 0, v3
	s_or_b32 s2, vcc_lo, s2
	s_delay_alu instid0(SALU_CYCLE_1)
	s_and_saveexec_b32 s3, s2
	s_cbranch_execz .LBB19_42
; %bb.1:
	s_load_b32 s8, s[0:1], 0x0
	s_wait_kmcnt 0x0
	s_cmp_lt_i32 s8, 1
	s_cbranch_scc1 .LBB19_42
; %bb.2:
	v_sub_co_u32 v2, s9, v0, 1
	s_clause 0x1
	s_load_b128 s[4:7], s[0:1], 0x10
	s_load_b64 s[2:3], s[0:1], 0x20
	s_wait_xcnt 0x0
	v_sub_co_u32 v3, s1, v0, 4
	v_lshl_add_u32 v7, v2, 2, 0x800
	v_sub_co_u32 v2, s0, v0, 2
	s_xor_b32 s10, s0, -1
	s_xor_b32 s11, s1, -1
	v_lshl_add_u32 v11, v3, 2, 0x800
	v_lshl_add_u32 v9, v2, 2, 0x800
	v_sub_co_u32 v2, s0, v0, 8
	v_sub_co_u32 v3, s1, v0, 16
	s_xor_b32 s12, s0, -1
	v_lshl_add_u32 v13, v2, 2, 0x800
	v_sub_co_u32 v2, s0, v0, 32
	v_lshlrev_b32_e32 v6, 3, v0
	s_xor_b32 s13, s1, -1
	v_lshl_add_u32 v15, v3, 2, 0x800
	s_xor_b32 s14, s0, -1
	v_sub_co_u32 v3, s0, v0, 64
	v_subrev_co_u32 v4, s1, 0x80, v0
	v_lshl_or_b32 v1, v0, 2, 0x800
	v_dual_add_nc_u32 v8, -8, v6 :: v_dual_add_nc_u32 v10, -16, v6
	v_subrev_nc_u32_e32 v12, 32, v6
	v_subrev_nc_u32_e32 v14, 64, v6
	v_add_nc_u32_e32 v16, 0xffffff80, v6
	v_lshl_add_u32 v17, v2, 2, 0x800
	v_add_nc_u32_e32 v18, 0xffffff00, v6
	v_lshl_add_u32 v19, v3, 2, 0x800
	;; [unrolled: 2-line block ×3, first 2 shown]
	v_add_nc_u32_e32 v22, 0xfffffc00, v6
	s_xor_b32 s9, s9, -1
	s_xor_b32 s15, s0, -1
	;; [unrolled: 1-line block ×3, first 2 shown]
	s_mov_b32 s17, 0
	v_cmp_gt_u32_e32 vcc_lo, 0xff, v0
	s_branch .LBB19_4
.LBB19_3:                               ;   in Loop: Header=BB19_4 Depth=1
	s_wait_xcnt 0x0
	s_or_b32 exec_lo, exec_lo, s0
	s_addk_co_i32 s17, 0x100
	s_wait_storecnt 0x0
	s_cmp_lt_i32 s17, s8
	s_barrier_signal -1
	s_barrier_wait -1
	s_cbranch_scc0 .LBB19_42
.LBB19_4:                               ; =>This Inner Loop Header: Depth=1
	v_dual_mov_b32 v2, 0 :: v_dual_add_nc_u32 v23, s17, v0
	v_dual_mov_b32 v3, -1 :: v_dual_mov_b32 v4, 0
	v_mov_b32_e32 v5, 0
	s_mov_b32 s1, exec_lo
	s_delay_alu instid0(VALU_DEP_3)
	v_cmpx_gt_i32_e64 s8, v23
	s_cbranch_execz .LBB19_6
; %bb.5:                                ;   in Loop: Header=BB19_4 Depth=1
	s_wait_kmcnt 0x0
	s_clause 0x1
	global_load_b32 v3, v23, s[4:5] scale_offset
	global_load_b64 v[4:5], v23, s[6:7] scale_offset
.LBB19_6:                               ;   in Loop: Header=BB19_4 Depth=1
	s_wait_xcnt 0x0
	s_or_b32 exec_lo, exec_lo, s1
	s_wait_loadcnt 0x1
	ds_store_b32 v1, v3
	s_wait_loadcnt 0x0
	ds_store_b64 v6, v[4:5]
	v_mov_b32_e32 v3, 0
	s_wait_dscnt 0x0
	s_barrier_signal -1
	s_barrier_wait -1
	s_and_saveexec_b32 s1, s9
	s_cbranch_execz .LBB19_10
; %bb.7:                                ;   in Loop: Header=BB19_4 Depth=1
	ds_load_2addr_b32 v[4:5], v7 offset1:1
	v_dual_mov_b32 v3, 0 :: v_dual_mov_b32 v2, 0
	s_mov_b32 s18, exec_lo
	s_wait_dscnt 0x0
	v_cmpx_eq_u32_e64 v5, v4
; %bb.8:                                ;   in Loop: Header=BB19_4 Depth=1
	ds_load_b64 v[2:3], v8
; %bb.9:                                ;   in Loop: Header=BB19_4 Depth=1
	s_or_b32 exec_lo, exec_lo, s18
.LBB19_10:                              ;   in Loop: Header=BB19_4 Depth=1
	s_delay_alu instid0(SALU_CYCLE_1)
	s_or_b32 exec_lo, exec_lo, s1
	s_wait_dscnt 0x0
	s_barrier_signal -1
	s_barrier_wait -1
	ds_load_b64 v[4:5], v6
	s_wait_dscnt 0x0
	v_pk_add_f32 v[24:25], v[2:3], v[4:5]
	v_dual_mov_b32 v2, 0 :: v_dual_mov_b32 v4, 0
	v_mov_b32_e32 v5, 0
	ds_store_b64 v6, v[24:25]
	s_wait_dscnt 0x0
	s_barrier_signal -1
	s_barrier_wait -1
	s_and_saveexec_b32 s1, s10
	s_cbranch_execz .LBB19_14
; %bb.11:                               ;   in Loop: Header=BB19_4 Depth=1
	ds_load_b32 v3, v1
	ds_load_b32 v4, v9
	v_mov_b32_e32 v5, 0
	s_wait_dscnt 0x0
	v_cmp_eq_u32_e64 s0, v3, v4
	v_mov_b32_e32 v4, 0
	s_and_saveexec_b32 s18, s0
; %bb.12:                               ;   in Loop: Header=BB19_4 Depth=1
	ds_load_b64 v[4:5], v10
; %bb.13:                               ;   in Loop: Header=BB19_4 Depth=1
	s_or_b32 exec_lo, exec_lo, s18
.LBB19_14:                              ;   in Loop: Header=BB19_4 Depth=1
	s_delay_alu instid0(SALU_CYCLE_1)
	s_or_b32 exec_lo, exec_lo, s1
	s_wait_dscnt 0x0
	s_barrier_signal -1
	s_barrier_wait -1
	ds_load_b64 v[24:25], v6
	v_mov_b32_e32 v3, 0
	s_wait_dscnt 0x0
	v_pk_add_f32 v[4:5], v[4:5], v[24:25]
	ds_store_b64 v6, v[4:5]
	s_wait_dscnt 0x0
	s_barrier_signal -1
	s_barrier_wait -1
	s_and_saveexec_b32 s1, s11
	s_cbranch_execz .LBB19_18
; %bb.15:                               ;   in Loop: Header=BB19_4 Depth=1
	ds_load_b32 v2, v1
	ds_load_b32 v4, v11
	v_mov_b32_e32 v3, 0
	s_wait_dscnt 0x0
	v_cmp_eq_u32_e64 s0, v2, v4
	v_mov_b32_e32 v2, 0
	s_and_saveexec_b32 s18, s0
; %bb.16:                               ;   in Loop: Header=BB19_4 Depth=1
	ds_load_b64 v[2:3], v12
; %bb.17:                               ;   in Loop: Header=BB19_4 Depth=1
	s_or_b32 exec_lo, exec_lo, s18
.LBB19_18:                              ;   in Loop: Header=BB19_4 Depth=1
	s_delay_alu instid0(SALU_CYCLE_1)
	s_or_b32 exec_lo, exec_lo, s1
	s_wait_dscnt 0x0
	s_barrier_signal -1
	s_barrier_wait -1
	ds_load_b64 v[4:5], v6
	s_wait_dscnt 0x0
	v_pk_add_f32 v[24:25], v[2:3], v[4:5]
	v_dual_mov_b32 v2, 0 :: v_dual_mov_b32 v4, 0
	v_mov_b32_e32 v5, 0
	ds_store_b64 v6, v[24:25]
	s_wait_dscnt 0x0
	s_barrier_signal -1
	s_barrier_wait -1
	s_and_saveexec_b32 s1, s12
	s_cbranch_execz .LBB19_22
; %bb.19:                               ;   in Loop: Header=BB19_4 Depth=1
	ds_load_b32 v3, v1
	ds_load_b32 v4, v13
	v_mov_b32_e32 v5, 0
	s_wait_dscnt 0x0
	v_cmp_eq_u32_e64 s0, v3, v4
	v_mov_b32_e32 v4, 0
	s_and_saveexec_b32 s18, s0
; %bb.20:                               ;   in Loop: Header=BB19_4 Depth=1
	ds_load_b64 v[4:5], v14
; %bb.21:                               ;   in Loop: Header=BB19_4 Depth=1
	s_or_b32 exec_lo, exec_lo, s18
.LBB19_22:                              ;   in Loop: Header=BB19_4 Depth=1
	s_delay_alu instid0(SALU_CYCLE_1)
	s_or_b32 exec_lo, exec_lo, s1
	s_wait_dscnt 0x0
	s_barrier_signal -1
	s_barrier_wait -1
	ds_load_b64 v[24:25], v6
	v_mov_b32_e32 v3, 0
	s_wait_dscnt 0x0
	v_pk_add_f32 v[4:5], v[4:5], v[24:25]
	ds_store_b64 v6, v[4:5]
	s_wait_dscnt 0x0
	s_barrier_signal -1
	s_barrier_wait -1
	s_and_saveexec_b32 s1, s13
	s_cbranch_execz .LBB19_26
; %bb.23:                               ;   in Loop: Header=BB19_4 Depth=1
	ds_load_b32 v2, v1
	ds_load_b32 v4, v15
	v_mov_b32_e32 v3, 0
	s_wait_dscnt 0x0
	v_cmp_eq_u32_e64 s0, v2, v4
	v_mov_b32_e32 v2, 0
	s_and_saveexec_b32 s18, s0
; %bb.24:                               ;   in Loop: Header=BB19_4 Depth=1
	ds_load_b64 v[2:3], v16
; %bb.25:                               ;   in Loop: Header=BB19_4 Depth=1
	s_or_b32 exec_lo, exec_lo, s18
.LBB19_26:                              ;   in Loop: Header=BB19_4 Depth=1
	;; [unrolled: 57-line block ×3, first 2 shown]
	s_delay_alu instid0(SALU_CYCLE_1)
	s_or_b32 exec_lo, exec_lo, s1
	s_wait_dscnt 0x0
	s_barrier_signal -1
	s_barrier_wait -1
	ds_load_b64 v[4:5], v6
	s_wait_dscnt 0x0
	v_pk_add_f32 v[4:5], v[2:3], v[4:5]
	v_dual_mov_b32 v2, 0 :: v_dual_mov_b32 v3, 0
	ds_store_b64 v6, v[4:5]
	s_wait_dscnt 0x0
	s_barrier_signal -1
	s_barrier_wait -1
	s_and_saveexec_b32 s1, s16
	s_cbranch_execz .LBB19_38
; %bb.35:                               ;   in Loop: Header=BB19_4 Depth=1
	ds_load_b32 v2, v1
	ds_load_b32 v4, v21
	v_mov_b32_e32 v3, 0
	s_wait_dscnt 0x0
	v_cmp_eq_u32_e64 s0, v2, v4
	v_mov_b32_e32 v2, 0
	s_and_saveexec_b32 s18, s0
; %bb.36:                               ;   in Loop: Header=BB19_4 Depth=1
	ds_load_b64 v[2:3], v22
; %bb.37:                               ;   in Loop: Header=BB19_4 Depth=1
	s_or_b32 exec_lo, exec_lo, s18
.LBB19_38:                              ;   in Loop: Header=BB19_4 Depth=1
	s_delay_alu instid0(SALU_CYCLE_1)
	s_or_b32 exec_lo, exec_lo, s1
	s_wait_dscnt 0x0
	s_barrier_signal -1
	s_barrier_wait -1
	ds_load_b64 v[4:5], v6
	s_wait_dscnt 0x0
	v_pk_add_f32 v[2:3], v[2:3], v[4:5]
	ds_store_b64 v6, v[2:3]
	s_wait_dscnt 0x0
	s_barrier_signal -1
	s_barrier_wait -1
	ds_load_b32 v2, v1
	v_mov_b32_e32 v3, -1
	s_and_saveexec_b32 s0, vcc_lo
; %bb.39:                               ;   in Loop: Header=BB19_4 Depth=1
	ds_load_b32 v3, v1 offset:4
; %bb.40:                               ;   in Loop: Header=BB19_4 Depth=1
	s_or_b32 exec_lo, exec_lo, s0
	s_wait_dscnt 0x0
	v_cmp_ne_u32_e64 s0, v2, v3
	v_cmp_lt_i32_e64 s1, -1, v2
	s_and_b32 s1, s1, s0
	s_delay_alu instid0(SALU_CYCLE_1)
	s_and_saveexec_b32 s0, s1
	s_cbranch_execz .LBB19_3
; %bb.41:                               ;   in Loop: Header=BB19_4 Depth=1
	s_wait_kmcnt 0x0
	global_load_b64 v[4:5], v2, s[2:3] scale_offset
	ds_load_b64 v[24:25], v6
	s_wait_loadcnt_dscnt 0x0
	v_pk_add_f32 v[4:5], v[24:25], v[4:5]
	global_store_b64 v2, v[4:5], s[2:3] scale_offset
	s_branch .LBB19_3
.LBB19_42:
	s_endpgm
	.section	.rodata,"a",@progbits
	.p2align	6, 0x0
	.amdhsa_kernel _ZN9rocsparseL29coomvn_segmented_loops_reduceILj256Ei21rocsparse_complex_numIfES2_EEvT0_NS_24const_host_device_scalarIT2_EEPKS3_PKS5_PT1_b
		.amdhsa_group_segment_fixed_size 3072
		.amdhsa_private_segment_fixed_size 0
		.amdhsa_kernarg_size 44
		.amdhsa_user_sgpr_count 2
		.amdhsa_user_sgpr_dispatch_ptr 0
		.amdhsa_user_sgpr_queue_ptr 0
		.amdhsa_user_sgpr_kernarg_segment_ptr 1
		.amdhsa_user_sgpr_dispatch_id 0
		.amdhsa_user_sgpr_kernarg_preload_length 0
		.amdhsa_user_sgpr_kernarg_preload_offset 0
		.amdhsa_user_sgpr_private_segment_size 0
		.amdhsa_wavefront_size32 1
		.amdhsa_uses_dynamic_stack 0
		.amdhsa_enable_private_segment 0
		.amdhsa_system_sgpr_workgroup_id_x 1
		.amdhsa_system_sgpr_workgroup_id_y 0
		.amdhsa_system_sgpr_workgroup_id_z 0
		.amdhsa_system_sgpr_workgroup_info 0
		.amdhsa_system_vgpr_workitem_id 0
		.amdhsa_next_free_vgpr 26
		.amdhsa_next_free_sgpr 19
		.amdhsa_named_barrier_count 0
		.amdhsa_reserve_vcc 1
		.amdhsa_float_round_mode_32 0
		.amdhsa_float_round_mode_16_64 0
		.amdhsa_float_denorm_mode_32 3
		.amdhsa_float_denorm_mode_16_64 3
		.amdhsa_fp16_overflow 0
		.amdhsa_memory_ordered 1
		.amdhsa_forward_progress 1
		.amdhsa_inst_pref_size 14
		.amdhsa_round_robin_scheduling 0
		.amdhsa_exception_fp_ieee_invalid_op 0
		.amdhsa_exception_fp_denorm_src 0
		.amdhsa_exception_fp_ieee_div_zero 0
		.amdhsa_exception_fp_ieee_overflow 0
		.amdhsa_exception_fp_ieee_underflow 0
		.amdhsa_exception_fp_ieee_inexact 0
		.amdhsa_exception_int_div_zero 0
	.end_amdhsa_kernel
	.section	.text._ZN9rocsparseL29coomvn_segmented_loops_reduceILj256Ei21rocsparse_complex_numIfES2_EEvT0_NS_24const_host_device_scalarIT2_EEPKS3_PKS5_PT1_b,"axG",@progbits,_ZN9rocsparseL29coomvn_segmented_loops_reduceILj256Ei21rocsparse_complex_numIfES2_EEvT0_NS_24const_host_device_scalarIT2_EEPKS3_PKS5_PT1_b,comdat
.Lfunc_end19:
	.size	_ZN9rocsparseL29coomvn_segmented_loops_reduceILj256Ei21rocsparse_complex_numIfES2_EEvT0_NS_24const_host_device_scalarIT2_EEPKS3_PKS5_PT1_b, .Lfunc_end19-_ZN9rocsparseL29coomvn_segmented_loops_reduceILj256Ei21rocsparse_complex_numIfES2_EEvT0_NS_24const_host_device_scalarIT2_EEPKS3_PKS5_PT1_b
                                        ; -- End function
	.set _ZN9rocsparseL29coomvn_segmented_loops_reduceILj256Ei21rocsparse_complex_numIfES2_EEvT0_NS_24const_host_device_scalarIT2_EEPKS3_PKS5_PT1_b.num_vgpr, 26
	.set _ZN9rocsparseL29coomvn_segmented_loops_reduceILj256Ei21rocsparse_complex_numIfES2_EEvT0_NS_24const_host_device_scalarIT2_EEPKS3_PKS5_PT1_b.num_agpr, 0
	.set _ZN9rocsparseL29coomvn_segmented_loops_reduceILj256Ei21rocsparse_complex_numIfES2_EEvT0_NS_24const_host_device_scalarIT2_EEPKS3_PKS5_PT1_b.numbered_sgpr, 19
	.set _ZN9rocsparseL29coomvn_segmented_loops_reduceILj256Ei21rocsparse_complex_numIfES2_EEvT0_NS_24const_host_device_scalarIT2_EEPKS3_PKS5_PT1_b.num_named_barrier, 0
	.set _ZN9rocsparseL29coomvn_segmented_loops_reduceILj256Ei21rocsparse_complex_numIfES2_EEvT0_NS_24const_host_device_scalarIT2_EEPKS3_PKS5_PT1_b.private_seg_size, 0
	.set _ZN9rocsparseL29coomvn_segmented_loops_reduceILj256Ei21rocsparse_complex_numIfES2_EEvT0_NS_24const_host_device_scalarIT2_EEPKS3_PKS5_PT1_b.uses_vcc, 1
	.set _ZN9rocsparseL29coomvn_segmented_loops_reduceILj256Ei21rocsparse_complex_numIfES2_EEvT0_NS_24const_host_device_scalarIT2_EEPKS3_PKS5_PT1_b.uses_flat_scratch, 0
	.set _ZN9rocsparseL29coomvn_segmented_loops_reduceILj256Ei21rocsparse_complex_numIfES2_EEvT0_NS_24const_host_device_scalarIT2_EEPKS3_PKS5_PT1_b.has_dyn_sized_stack, 0
	.set _ZN9rocsparseL29coomvn_segmented_loops_reduceILj256Ei21rocsparse_complex_numIfES2_EEvT0_NS_24const_host_device_scalarIT2_EEPKS3_PKS5_PT1_b.has_recursion, 0
	.set _ZN9rocsparseL29coomvn_segmented_loops_reduceILj256Ei21rocsparse_complex_numIfES2_EEvT0_NS_24const_host_device_scalarIT2_EEPKS3_PKS5_PT1_b.has_indirect_call, 0
	.section	.AMDGPU.csdata,"",@progbits
; Kernel info:
; codeLenInByte = 1704
; TotalNumSgprs: 21
; NumVgprs: 26
; ScratchSize: 0
; MemoryBound: 0
; FloatMode: 240
; IeeeMode: 1
; LDSByteSize: 3072 bytes/workgroup (compile time only)
; SGPRBlocks: 0
; VGPRBlocks: 1
; NumSGPRsForWavesPerEU: 21
; NumVGPRsForWavesPerEU: 26
; NamedBarCnt: 0
; Occupancy: 16
; WaveLimiterHint : 0
; COMPUTE_PGM_RSRC2:SCRATCH_EN: 0
; COMPUTE_PGM_RSRC2:USER_SGPR: 2
; COMPUTE_PGM_RSRC2:TRAP_HANDLER: 0
; COMPUTE_PGM_RSRC2:TGID_X_EN: 1
; COMPUTE_PGM_RSRC2:TGID_Y_EN: 0
; COMPUTE_PGM_RSRC2:TGID_Z_EN: 0
; COMPUTE_PGM_RSRC2:TIDIG_COMP_CNT: 0
	.section	.text._ZN9rocsparseL23coomvn_aos_atomic_loopsILj256ELj1El21rocsparse_complex_numIfES2_S2_S2_EEvlNS_24const_host_device_scalarIT5_EEPKT1_PKT2_PKT3_PT4_21rocsparse_index_base_b,"axG",@progbits,_ZN9rocsparseL23coomvn_aos_atomic_loopsILj256ELj1El21rocsparse_complex_numIfES2_S2_S2_EEvlNS_24const_host_device_scalarIT5_EEPKT1_PKT2_PKT3_PT4_21rocsparse_index_base_b,comdat
	.globl	_ZN9rocsparseL23coomvn_aos_atomic_loopsILj256ELj1El21rocsparse_complex_numIfES2_S2_S2_EEvlNS_24const_host_device_scalarIT5_EEPKT1_PKT2_PKT3_PT4_21rocsparse_index_base_b ; -- Begin function _ZN9rocsparseL23coomvn_aos_atomic_loopsILj256ELj1El21rocsparse_complex_numIfES2_S2_S2_EEvlNS_24const_host_device_scalarIT5_EEPKT1_PKT2_PKT3_PT4_21rocsparse_index_base_b
	.p2align	8
	.type	_ZN9rocsparseL23coomvn_aos_atomic_loopsILj256ELj1El21rocsparse_complex_numIfES2_S2_S2_EEvlNS_24const_host_device_scalarIT5_EEPKT1_PKT2_PKT3_PT4_21rocsparse_index_base_b,@function
_ZN9rocsparseL23coomvn_aos_atomic_loopsILj256ELj1El21rocsparse_complex_numIfES2_S2_S2_EEvlNS_24const_host_device_scalarIT5_EEPKT1_PKT2_PKT3_PT4_21rocsparse_index_base_b: ; @_ZN9rocsparseL23coomvn_aos_atomic_loopsILj256ELj1El21rocsparse_complex_numIfES2_S2_S2_EEvlNS_24const_host_device_scalarIT5_EEPKT1_PKT2_PKT3_PT4_21rocsparse_index_base_b
; %bb.0:
	s_clause 0x1
	s_load_b64 s[8:9], s[0:1], 0x30
	s_load_b128 s[4:7], s[0:1], 0x0
	v_mov_b32_e32 v9, 0
	s_or_b64 s[2:3], s[0:1], 8
	s_wait_kmcnt 0x0
	s_bitcmp1_b32 s9, 0
	s_cselect_b32 s3, s3, s7
	s_cselect_b32 s2, s2, s6
	flat_load_b64 v[2:3], v9, s[2:3]
	s_wait_loadcnt_dscnt 0x0
	v_cmp_neq_f32_e32 vcc_lo, 0, v2
	v_cmp_neq_f32_e64 s2, 0, v3
	s_or_b32 s2, vcc_lo, s2
	s_delay_alu instid0(SALU_CYCLE_1)
	s_and_saveexec_b32 s3, s2
	s_cbranch_execz .LBB20_40
; %bb.1:
	s_bfe_u32 s2, ttmp6, 0x4000c
	s_and_b32 s3, ttmp6, 15
	s_add_co_i32 s2, s2, 1
	s_getreg_b32 s6, hwreg(HW_REG_IB_STS2, 6, 4)
	s_mul_i32 s2, ttmp9, s2
	v_mov_b64_e32 v[4:5], -1
	s_add_co_i32 s3, s3, s2
	s_cmp_eq_u32 s6, 0
	v_mov_b64_e32 v[6:7], 0
	s_cselect_b32 s2, ttmp9, s3
	s_delay_alu instid0(SALU_CYCLE_1) | instskip(SKIP_1) | instid1(VALU_DEP_1)
	v_lshl_or_b32 v8, s2, 8, v0
	s_mov_b32 s2, exec_lo
	v_cmpx_gt_i64_e64 s[4:5], v[8:9]
	s_cbranch_execz .LBB20_3
; %bb.2:
	s_clause 0x1
	s_load_b128 s[4:7], s[0:1], 0x10
	s_load_b64 s[10:11], s[0:1], 0x20
	s_mov_b32 s9, 0
	s_wait_kmcnt 0x0
	v_lshl_add_u64 v[4:5], v[8:9], 4, s[4:5]
	v_lshl_add_u64 v[8:9], v[8:9], 3, s[6:7]
	global_load_b128 v[4:7], v[4:5], off th:TH_LOAD_NT
	s_wait_loadcnt 0x0
	v_sub_nc_u64_e64 v[6:7], v[6:7], s[8:9]
	v_sub_nc_u64_e64 v[4:5], v[4:5], s[8:9]
	s_delay_alu instid0(VALU_DEP_2) | instskip(SKIP_4) | instid1(VALU_DEP_1)
	v_lshl_add_u64 v[6:7], v[6:7], 3, s[10:11]
	global_load_b64 v[10:11], v[6:7], off
	global_load_b64 v[12:13], v[8:9], off th:TH_LOAD_NT
	s_wait_loadcnt 0x0
	v_pk_mul_f32 v[6:7], v[10:11], v[12:13] op_sel:[1,1] op_sel_hi:[1,0] neg_lo:[0,1]
	v_pk_fma_f32 v[6:7], v[12:13], v[10:11], v[6:7] op_sel_hi:[1,0,1]
.LBB20_3:
	s_or_b32 exec_lo, exec_lo, s2
	v_lshlrev_b32_e32 v1, 3, v0
	s_mov_b32 s2, exec_lo
	s_delay_alu instid0(VALU_DEP_1)
	v_or_b32_e32 v8, 0x800, v1
	ds_store_2addr_stride64_b64 v1, v[4:5], v[6:7] offset1:4
	s_wait_dscnt 0x0
	s_barrier_signal -1
	s_barrier_wait -1
	v_cmpx_ne_u32_e32 0, v0
	s_cbranch_execz .LBB20_7
; %bb.4:
	v_add_nc_u32_e32 v9, -8, v1
	s_mov_b32 s3, exec_lo
	ds_load_b64 v[10:11], v9
	s_wait_dscnt 0x0
	v_cmpx_eq_u64_e64 v[4:5], v[10:11]
	s_cbranch_execz .LBB20_6
; %bb.5:
	v_add_nc_u32_e32 v9, -8, v8
	ds_load_b64 v[10:11], v9
	s_wait_dscnt 0x0
	v_pk_add_f32 v[6:7], v[6:7], v[10:11]
.LBB20_6:
	s_or_b32 exec_lo, exec_lo, s3
.LBB20_7:
	s_delay_alu instid0(SALU_CYCLE_1) | instskip(NEXT) | instid1(SALU_CYCLE_1)
	s_or_b32 exec_lo, exec_lo, s2
	s_mov_b32 s2, exec_lo
	s_barrier_signal -1
	s_barrier_wait -1
	ds_store_b64 v8, v[6:7]
	s_wait_dscnt 0x0
	s_barrier_signal -1
	s_barrier_wait -1
	v_cmpx_lt_u32_e32 1, v0
	s_cbranch_execz .LBB20_11
; %bb.8:
	v_add_nc_u32_e32 v9, -16, v1
	s_mov_b32 s3, exec_lo
	ds_load_b64 v[10:11], v9
	s_wait_dscnt 0x0
	v_cmpx_eq_u64_e64 v[4:5], v[10:11]
	s_cbranch_execz .LBB20_10
; %bb.9:
	v_add_nc_u32_e32 v9, -16, v8
	ds_load_b64 v[10:11], v9
	s_wait_dscnt 0x0
	v_pk_add_f32 v[6:7], v[6:7], v[10:11]
.LBB20_10:
	s_or_b32 exec_lo, exec_lo, s3
.LBB20_11:
	s_delay_alu instid0(SALU_CYCLE_1) | instskip(NEXT) | instid1(SALU_CYCLE_1)
	s_or_b32 exec_lo, exec_lo, s2
	s_mov_b32 s2, exec_lo
	s_barrier_signal -1
	s_barrier_wait -1
	ds_store_b64 v8, v[6:7]
	s_wait_dscnt 0x0
	s_barrier_signal -1
	s_barrier_wait -1
	v_cmpx_lt_u32_e32 3, v0
	s_cbranch_execz .LBB20_15
; %bb.12:
	v_subrev_nc_u32_e32 v9, 32, v1
	s_mov_b32 s3, exec_lo
	ds_load_b64 v[10:11], v9
	s_wait_dscnt 0x0
	v_cmpx_eq_u64_e64 v[4:5], v[10:11]
	s_cbranch_execz .LBB20_14
; %bb.13:
	v_subrev_nc_u32_e32 v9, 32, v8
	ds_load_b64 v[10:11], v9
	s_wait_dscnt 0x0
	v_pk_add_f32 v[6:7], v[6:7], v[10:11]
.LBB20_14:
	s_or_b32 exec_lo, exec_lo, s3
.LBB20_15:
	s_delay_alu instid0(SALU_CYCLE_1) | instskip(NEXT) | instid1(SALU_CYCLE_1)
	s_or_b32 exec_lo, exec_lo, s2
	s_mov_b32 s2, exec_lo
	s_barrier_signal -1
	s_barrier_wait -1
	ds_store_b64 v8, v[6:7]
	s_wait_dscnt 0x0
	s_barrier_signal -1
	s_barrier_wait -1
	v_cmpx_lt_u32_e32 7, v0
	s_cbranch_execz .LBB20_19
; %bb.16:
	v_subrev_nc_u32_e32 v9, 64, v1
	s_mov_b32 s3, exec_lo
	ds_load_b64 v[10:11], v9
	s_wait_dscnt 0x0
	v_cmpx_eq_u64_e64 v[4:5], v[10:11]
	s_cbranch_execz .LBB20_18
; %bb.17:
	v_subrev_nc_u32_e32 v9, 64, v8
	ds_load_b64 v[10:11], v9
	s_wait_dscnt 0x0
	v_pk_add_f32 v[6:7], v[6:7], v[10:11]
.LBB20_18:
	s_or_b32 exec_lo, exec_lo, s3
.LBB20_19:
	s_delay_alu instid0(SALU_CYCLE_1) | instskip(NEXT) | instid1(SALU_CYCLE_1)
	s_or_b32 exec_lo, exec_lo, s2
	s_mov_b32 s2, exec_lo
	s_barrier_signal -1
	s_barrier_wait -1
	ds_store_b64 v8, v[6:7]
	s_wait_dscnt 0x0
	s_barrier_signal -1
	s_barrier_wait -1
	v_cmpx_lt_u32_e32 15, v0
	s_cbranch_execz .LBB20_23
; %bb.20:
	v_add_nc_u32_e32 v9, 0xffffff80, v1
	s_mov_b32 s3, exec_lo
	ds_load_b64 v[10:11], v9
	s_wait_dscnt 0x0
	v_cmpx_eq_u64_e64 v[4:5], v[10:11]
	s_cbranch_execz .LBB20_22
; %bb.21:
	v_add_nc_u32_e32 v9, 0xffffff80, v8
	ds_load_b64 v[10:11], v9
	s_wait_dscnt 0x0
	v_pk_add_f32 v[6:7], v[6:7], v[10:11]
.LBB20_22:
	s_or_b32 exec_lo, exec_lo, s3
.LBB20_23:
	s_delay_alu instid0(SALU_CYCLE_1) | instskip(NEXT) | instid1(SALU_CYCLE_1)
	s_or_b32 exec_lo, exec_lo, s2
	s_mov_b32 s2, exec_lo
	s_barrier_signal -1
	s_barrier_wait -1
	ds_store_b64 v8, v[6:7]
	s_wait_dscnt 0x0
	s_barrier_signal -1
	s_barrier_wait -1
	v_cmpx_lt_u32_e32 31, v0
	s_cbranch_execz .LBB20_27
; %bb.24:
	v_add_nc_u32_e32 v9, 0xffffff00, v1
	s_mov_b32 s3, exec_lo
	ds_load_b64 v[10:11], v9
	s_wait_dscnt 0x0
	v_cmpx_eq_u64_e64 v[4:5], v[10:11]
	s_cbranch_execz .LBB20_26
; %bb.25:
	v_add_nc_u32_e32 v9, 0xffffff00, v8
	ds_load_b64 v[10:11], v9
	s_wait_dscnt 0x0
	v_pk_add_f32 v[6:7], v[6:7], v[10:11]
.LBB20_26:
	s_or_b32 exec_lo, exec_lo, s3
.LBB20_27:
	;; [unrolled: 26-line block ×4, first 2 shown]
	s_delay_alu instid0(SALU_CYCLE_1)
	s_or_b32 exec_lo, exec_lo, s2
	s_load_b64 s[2:3], s[0:1], 0x28
	s_wait_xcnt 0x0
	s_mov_b32 s1, exec_lo
	s_barrier_signal -1
	s_barrier_wait -1
	ds_store_b64 v8, v[6:7]
	s_wait_dscnt 0x0
	s_barrier_signal -1
	s_barrier_wait -1
	v_cmpx_gt_u32_e32 0xff, v0
	s_cbranch_execz .LBB20_38
; %bb.36:
	ds_load_b64 v[8:9], v1 offset:8
	v_cmp_lt_i64_e64 s0, -1, v[4:5]
	s_wait_dscnt 0x0
	v_cmp_ne_u64_e32 vcc_lo, v[4:5], v[8:9]
	s_and_b32 s0, s0, vcc_lo
	s_delay_alu instid0(SALU_CYCLE_1)
	s_and_b32 exec_lo, exec_lo, s0
	s_cbranch_execz .LBB20_38
; %bb.37:
	v_mul_f32_e64 v1, v7, -v3
	v_mul_f32_e32 v10, v2, v7
	s_wait_kmcnt 0x0
	v_lshl_add_u64 v[8:9], v[4:5], 3, s[2:3]
	s_delay_alu instid0(VALU_DEP_2)
	v_dual_fmac_f32 v1, v2, v6 :: v_dual_fmac_f32 v10, v3, v6
	global_atomic_add_f32 v[8:9], v1, off scope:SCOPE_DEV
	s_wait_xcnt 0x0
	global_atomic_add_f32 v[8:9], v10, off offset:4 scope:SCOPE_DEV
.LBB20_38:
	s_wait_xcnt 0x0
	s_or_b32 exec_lo, exec_lo, s1
	v_cmp_lt_i64_e32 vcc_lo, -1, v[4:5]
	v_cmp_eq_u32_e64 s0, 0xff, v0
	s_and_b32 s0, s0, vcc_lo
	s_delay_alu instid0(SALU_CYCLE_1)
	s_and_b32 exec_lo, exec_lo, s0
	s_cbranch_execz .LBB20_40
; %bb.39:
	v_mul_f32_e64 v8, v7, -v3
	v_mul_f32_e32 v7, v2, v7
	s_wait_kmcnt 0x0
	v_lshl_add_u64 v[0:1], v[4:5], 3, s[2:3]
	s_delay_alu instid0(VALU_DEP_2)
	v_dual_fmac_f32 v8, v2, v6 :: v_dual_fmac_f32 v7, v3, v6
	global_atomic_add_f32 v[0:1], v8, off scope:SCOPE_DEV
	s_wait_xcnt 0x0
	global_atomic_add_f32 v[0:1], v7, off offset:4 scope:SCOPE_DEV
.LBB20_40:
	s_endpgm
	.section	.rodata,"a",@progbits
	.p2align	6, 0x0
	.amdhsa_kernel _ZN9rocsparseL23coomvn_aos_atomic_loopsILj256ELj1El21rocsparse_complex_numIfES2_S2_S2_EEvlNS_24const_host_device_scalarIT5_EEPKT1_PKT2_PKT3_PT4_21rocsparse_index_base_b
		.amdhsa_group_segment_fixed_size 4096
		.amdhsa_private_segment_fixed_size 0
		.amdhsa_kernarg_size 56
		.amdhsa_user_sgpr_count 2
		.amdhsa_user_sgpr_dispatch_ptr 0
		.amdhsa_user_sgpr_queue_ptr 0
		.amdhsa_user_sgpr_kernarg_segment_ptr 1
		.amdhsa_user_sgpr_dispatch_id 0
		.amdhsa_user_sgpr_kernarg_preload_length 0
		.amdhsa_user_sgpr_kernarg_preload_offset 0
		.amdhsa_user_sgpr_private_segment_size 0
		.amdhsa_wavefront_size32 1
		.amdhsa_uses_dynamic_stack 0
		.amdhsa_enable_private_segment 0
		.amdhsa_system_sgpr_workgroup_id_x 1
		.amdhsa_system_sgpr_workgroup_id_y 0
		.amdhsa_system_sgpr_workgroup_id_z 0
		.amdhsa_system_sgpr_workgroup_info 0
		.amdhsa_system_vgpr_workitem_id 0
		.amdhsa_next_free_vgpr 14
		.amdhsa_next_free_sgpr 12
		.amdhsa_named_barrier_count 0
		.amdhsa_reserve_vcc 1
		.amdhsa_float_round_mode_32 0
		.amdhsa_float_round_mode_16_64 0
		.amdhsa_float_denorm_mode_32 3
		.amdhsa_float_denorm_mode_16_64 3
		.amdhsa_fp16_overflow 0
		.amdhsa_memory_ordered 1
		.amdhsa_forward_progress 1
		.amdhsa_inst_pref_size 12
		.amdhsa_round_robin_scheduling 0
		.amdhsa_exception_fp_ieee_invalid_op 0
		.amdhsa_exception_fp_denorm_src 0
		.amdhsa_exception_fp_ieee_div_zero 0
		.amdhsa_exception_fp_ieee_overflow 0
		.amdhsa_exception_fp_ieee_underflow 0
		.amdhsa_exception_fp_ieee_inexact 0
		.amdhsa_exception_int_div_zero 0
	.end_amdhsa_kernel
	.section	.text._ZN9rocsparseL23coomvn_aos_atomic_loopsILj256ELj1El21rocsparse_complex_numIfES2_S2_S2_EEvlNS_24const_host_device_scalarIT5_EEPKT1_PKT2_PKT3_PT4_21rocsparse_index_base_b,"axG",@progbits,_ZN9rocsparseL23coomvn_aos_atomic_loopsILj256ELj1El21rocsparse_complex_numIfES2_S2_S2_EEvlNS_24const_host_device_scalarIT5_EEPKT1_PKT2_PKT3_PT4_21rocsparse_index_base_b,comdat
.Lfunc_end20:
	.size	_ZN9rocsparseL23coomvn_aos_atomic_loopsILj256ELj1El21rocsparse_complex_numIfES2_S2_S2_EEvlNS_24const_host_device_scalarIT5_EEPKT1_PKT2_PKT3_PT4_21rocsparse_index_base_b, .Lfunc_end20-_ZN9rocsparseL23coomvn_aos_atomic_loopsILj256ELj1El21rocsparse_complex_numIfES2_S2_S2_EEvlNS_24const_host_device_scalarIT5_EEPKT1_PKT2_PKT3_PT4_21rocsparse_index_base_b
                                        ; -- End function
	.set _ZN9rocsparseL23coomvn_aos_atomic_loopsILj256ELj1El21rocsparse_complex_numIfES2_S2_S2_EEvlNS_24const_host_device_scalarIT5_EEPKT1_PKT2_PKT3_PT4_21rocsparse_index_base_b.num_vgpr, 14
	.set _ZN9rocsparseL23coomvn_aos_atomic_loopsILj256ELj1El21rocsparse_complex_numIfES2_S2_S2_EEvlNS_24const_host_device_scalarIT5_EEPKT1_PKT2_PKT3_PT4_21rocsparse_index_base_b.num_agpr, 0
	.set _ZN9rocsparseL23coomvn_aos_atomic_loopsILj256ELj1El21rocsparse_complex_numIfES2_S2_S2_EEvlNS_24const_host_device_scalarIT5_EEPKT1_PKT2_PKT3_PT4_21rocsparse_index_base_b.numbered_sgpr, 12
	.set _ZN9rocsparseL23coomvn_aos_atomic_loopsILj256ELj1El21rocsparse_complex_numIfES2_S2_S2_EEvlNS_24const_host_device_scalarIT5_EEPKT1_PKT2_PKT3_PT4_21rocsparse_index_base_b.num_named_barrier, 0
	.set _ZN9rocsparseL23coomvn_aos_atomic_loopsILj256ELj1El21rocsparse_complex_numIfES2_S2_S2_EEvlNS_24const_host_device_scalarIT5_EEPKT1_PKT2_PKT3_PT4_21rocsparse_index_base_b.private_seg_size, 0
	.set _ZN9rocsparseL23coomvn_aos_atomic_loopsILj256ELj1El21rocsparse_complex_numIfES2_S2_S2_EEvlNS_24const_host_device_scalarIT5_EEPKT1_PKT2_PKT3_PT4_21rocsparse_index_base_b.uses_vcc, 1
	.set _ZN9rocsparseL23coomvn_aos_atomic_loopsILj256ELj1El21rocsparse_complex_numIfES2_S2_S2_EEvlNS_24const_host_device_scalarIT5_EEPKT1_PKT2_PKT3_PT4_21rocsparse_index_base_b.uses_flat_scratch, 0
	.set _ZN9rocsparseL23coomvn_aos_atomic_loopsILj256ELj1El21rocsparse_complex_numIfES2_S2_S2_EEvlNS_24const_host_device_scalarIT5_EEPKT1_PKT2_PKT3_PT4_21rocsparse_index_base_b.has_dyn_sized_stack, 0
	.set _ZN9rocsparseL23coomvn_aos_atomic_loopsILj256ELj1El21rocsparse_complex_numIfES2_S2_S2_EEvlNS_24const_host_device_scalarIT5_EEPKT1_PKT2_PKT3_PT4_21rocsparse_index_base_b.has_recursion, 0
	.set _ZN9rocsparseL23coomvn_aos_atomic_loopsILj256ELj1El21rocsparse_complex_numIfES2_S2_S2_EEvlNS_24const_host_device_scalarIT5_EEPKT1_PKT2_PKT3_PT4_21rocsparse_index_base_b.has_indirect_call, 0
	.section	.AMDGPU.csdata,"",@progbits
; Kernel info:
; codeLenInByte = 1472
; TotalNumSgprs: 14
; NumVgprs: 14
; ScratchSize: 0
; MemoryBound: 0
; FloatMode: 240
; IeeeMode: 1
; LDSByteSize: 4096 bytes/workgroup (compile time only)
; SGPRBlocks: 0
; VGPRBlocks: 0
; NumSGPRsForWavesPerEU: 14
; NumVGPRsForWavesPerEU: 14
; NamedBarCnt: 0
; Occupancy: 16
; WaveLimiterHint : 1
; COMPUTE_PGM_RSRC2:SCRATCH_EN: 0
; COMPUTE_PGM_RSRC2:USER_SGPR: 2
; COMPUTE_PGM_RSRC2:TRAP_HANDLER: 0
; COMPUTE_PGM_RSRC2:TGID_X_EN: 1
; COMPUTE_PGM_RSRC2:TGID_Y_EN: 0
; COMPUTE_PGM_RSRC2:TGID_Z_EN: 0
; COMPUTE_PGM_RSRC2:TIDIG_COMP_CNT: 0
	.section	.text._ZN9rocsparseL17coomvt_aos_kernelILj1024El21rocsparse_complex_numIfES2_S2_S2_EEv20rocsparse_operation_lNS_24const_host_device_scalarIT4_EEPKT0_PKT1_PKT2_PT3_21rocsparse_index_base_b,"axG",@progbits,_ZN9rocsparseL17coomvt_aos_kernelILj1024El21rocsparse_complex_numIfES2_S2_S2_EEv20rocsparse_operation_lNS_24const_host_device_scalarIT4_EEPKT0_PKT1_PKT2_PT3_21rocsparse_index_base_b,comdat
	.globl	_ZN9rocsparseL17coomvt_aos_kernelILj1024El21rocsparse_complex_numIfES2_S2_S2_EEv20rocsparse_operation_lNS_24const_host_device_scalarIT4_EEPKT0_PKT1_PKT2_PT3_21rocsparse_index_base_b ; -- Begin function _ZN9rocsparseL17coomvt_aos_kernelILj1024El21rocsparse_complex_numIfES2_S2_S2_EEv20rocsparse_operation_lNS_24const_host_device_scalarIT4_EEPKT0_PKT1_PKT2_PT3_21rocsparse_index_base_b
	.p2align	8
	.type	_ZN9rocsparseL17coomvt_aos_kernelILj1024El21rocsparse_complex_numIfES2_S2_S2_EEv20rocsparse_operation_lNS_24const_host_device_scalarIT4_EEPKT0_PKT1_PKT2_PT3_21rocsparse_index_base_b,@function
_ZN9rocsparseL17coomvt_aos_kernelILj1024El21rocsparse_complex_numIfES2_S2_S2_EEv20rocsparse_operation_lNS_24const_host_device_scalarIT4_EEPKT0_PKT1_PKT2_PT3_21rocsparse_index_base_b: ; @_ZN9rocsparseL17coomvt_aos_kernelILj1024El21rocsparse_complex_numIfES2_S2_S2_EEv20rocsparse_operation_lNS_24const_host_device_scalarIT4_EEPKT0_PKT1_PKT2_PT3_21rocsparse_index_base_b
; %bb.0:
	s_clause 0x1
	s_load_b64 s[8:9], s[0:1], 0x38
	s_load_b128 s[4:7], s[0:1], 0x8
	v_mov_b32_e32 v1, 0
	s_add_nc_u64 s[2:3], s[0:1], 16
	s_wait_kmcnt 0x0
	s_bitcmp1_b32 s9, 0
	s_cselect_b32 s3, s3, s7
	s_cselect_b32 s2, s2, s6
	flat_load_b64 v[2:3], v1, s[2:3]
	s_wait_loadcnt_dscnt 0x0
	v_cmp_neq_f32_e32 vcc_lo, 0, v2
	v_cmp_neq_f32_e64 s2, 0, v3
	s_or_b32 s2, vcc_lo, s2
	s_delay_alu instid0(SALU_CYCLE_1)
	s_and_saveexec_b32 s3, s2
	s_cbranch_execz .LBB21_3
; %bb.1:
	s_load_b32 s2, s[0:1], 0x4c
	s_bfe_u32 s3, ttmp6, 0x4000c
	s_and_b32 s6, ttmp6, 15
	s_add_co_i32 s3, s3, 1
	s_getreg_b32 s7, hwreg(HW_REG_IB_STS2, 6, 4)
	s_mul_i32 s3, ttmp9, s3
	s_delay_alu instid0(SALU_CYCLE_1) | instskip(SKIP_4) | instid1(SALU_CYCLE_1)
	s_add_co_i32 s6, s6, s3
	s_wait_kmcnt 0x0
	s_and_b32 s2, s2, 0xffff
	s_cmp_eq_u32 s7, 0
	s_cselect_b32 s3, ttmp9, s6
	v_mad_u32 v0, s3, s2, v0
	s_delay_alu instid0(VALU_DEP_1)
	v_cmp_gt_i64_e32 vcc_lo, s[4:5], v[0:1]
	s_and_b32 exec_lo, exec_lo, vcc_lo
	s_cbranch_execz .LBB21_3
; %bb.2:
	s_load_b256 s[12:19], s[0:1], 0x18
	s_mov_b32 s9, 0
	s_wait_xcnt 0x0
	s_load_b32 s0, s[0:1], 0x0
	s_wait_kmcnt 0x0
	v_lshl_add_u64 v[4:5], v[0:1], 4, s[12:13]
	v_lshl_add_u64 v[0:1], v[0:1], 3, s[14:15]
	s_cmp_eq_u32 s0, 0x71
	s_cselect_b32 s0, -1, 0
	global_load_b128 v[4:7], v[4:5], off
	global_load_b64 v[0:1], v[0:1], off
	s_wait_loadcnt 0x1
	s_wait_xcnt 0x1
	v_sub_nc_u64_e64 v[4:5], v[4:5], s[8:9]
	s_wait_loadcnt 0x0
	v_cndmask_b32_e64 v1, v1, -v1, s0
	s_delay_alu instid0(VALU_DEP_1) | instskip(NEXT) | instid1(VALU_DEP_3)
	v_mul_f32_e32 v8, v2, v1
	v_lshl_add_u64 v[4:5], v[4:5], 3, s[16:17]
	s_delay_alu instid0(VALU_DEP_2) | instskip(SKIP_2) | instid1(VALU_DEP_1)
	v_fmac_f32_e32 v8, v3, v0
	global_load_b64 v[4:5], v[4:5], off
	v_mul_f32_e64 v9, v1, -v3
	v_fmac_f32_e32 v9, v2, v0
	v_sub_nc_u64_e64 v[0:1], v[6:7], s[8:9]
	s_delay_alu instid0(VALU_DEP_1) | instskip(SKIP_2) | instid1(VALU_DEP_1)
	v_lshl_add_u64 v[0:1], v[0:1], 3, s[18:19]
	s_wait_loadcnt 0x0
	v_mul_f32_e64 v2, v5, -v8
	v_dual_mul_f32 v3, v9, v5 :: v_dual_fmac_f32 v2, v9, v4
	s_delay_alu instid0(VALU_DEP_1)
	v_fmac_f32_e32 v3, v8, v4
	global_atomic_add_f32 v[0:1], v2, off scope:SCOPE_DEV
	s_wait_xcnt 0x0
	global_atomic_add_f32 v[0:1], v3, off offset:4 scope:SCOPE_DEV
.LBB21_3:
	s_endpgm
	.section	.rodata,"a",@progbits
	.p2align	6, 0x0
	.amdhsa_kernel _ZN9rocsparseL17coomvt_aos_kernelILj1024El21rocsparse_complex_numIfES2_S2_S2_EEv20rocsparse_operation_lNS_24const_host_device_scalarIT4_EEPKT0_PKT1_PKT2_PT3_21rocsparse_index_base_b
		.amdhsa_group_segment_fixed_size 0
		.amdhsa_private_segment_fixed_size 0
		.amdhsa_kernarg_size 320
		.amdhsa_user_sgpr_count 2
		.amdhsa_user_sgpr_dispatch_ptr 0
		.amdhsa_user_sgpr_queue_ptr 0
		.amdhsa_user_sgpr_kernarg_segment_ptr 1
		.amdhsa_user_sgpr_dispatch_id 0
		.amdhsa_user_sgpr_kernarg_preload_length 0
		.amdhsa_user_sgpr_kernarg_preload_offset 0
		.amdhsa_user_sgpr_private_segment_size 0
		.amdhsa_wavefront_size32 1
		.amdhsa_uses_dynamic_stack 0
		.amdhsa_enable_private_segment 0
		.amdhsa_system_sgpr_workgroup_id_x 1
		.amdhsa_system_sgpr_workgroup_id_y 0
		.amdhsa_system_sgpr_workgroup_id_z 0
		.amdhsa_system_sgpr_workgroup_info 0
		.amdhsa_system_vgpr_workitem_id 0
		.amdhsa_next_free_vgpr 10
		.amdhsa_next_free_sgpr 20
		.amdhsa_named_barrier_count 0
		.amdhsa_reserve_vcc 1
		.amdhsa_float_round_mode_32 0
		.amdhsa_float_round_mode_16_64 0
		.amdhsa_float_denorm_mode_32 3
		.amdhsa_float_denorm_mode_16_64 3
		.amdhsa_fp16_overflow 0
		.amdhsa_memory_ordered 1
		.amdhsa_forward_progress 1
		.amdhsa_inst_pref_size 4
		.amdhsa_round_robin_scheduling 0
		.amdhsa_exception_fp_ieee_invalid_op 0
		.amdhsa_exception_fp_denorm_src 0
		.amdhsa_exception_fp_ieee_div_zero 0
		.amdhsa_exception_fp_ieee_overflow 0
		.amdhsa_exception_fp_ieee_underflow 0
		.amdhsa_exception_fp_ieee_inexact 0
		.amdhsa_exception_int_div_zero 0
	.end_amdhsa_kernel
	.section	.text._ZN9rocsparseL17coomvt_aos_kernelILj1024El21rocsparse_complex_numIfES2_S2_S2_EEv20rocsparse_operation_lNS_24const_host_device_scalarIT4_EEPKT0_PKT1_PKT2_PT3_21rocsparse_index_base_b,"axG",@progbits,_ZN9rocsparseL17coomvt_aos_kernelILj1024El21rocsparse_complex_numIfES2_S2_S2_EEv20rocsparse_operation_lNS_24const_host_device_scalarIT4_EEPKT0_PKT1_PKT2_PT3_21rocsparse_index_base_b,comdat
.Lfunc_end21:
	.size	_ZN9rocsparseL17coomvt_aos_kernelILj1024El21rocsparse_complex_numIfES2_S2_S2_EEv20rocsparse_operation_lNS_24const_host_device_scalarIT4_EEPKT0_PKT1_PKT2_PT3_21rocsparse_index_base_b, .Lfunc_end21-_ZN9rocsparseL17coomvt_aos_kernelILj1024El21rocsparse_complex_numIfES2_S2_S2_EEv20rocsparse_operation_lNS_24const_host_device_scalarIT4_EEPKT0_PKT1_PKT2_PT3_21rocsparse_index_base_b
                                        ; -- End function
	.set _ZN9rocsparseL17coomvt_aos_kernelILj1024El21rocsparse_complex_numIfES2_S2_S2_EEv20rocsparse_operation_lNS_24const_host_device_scalarIT4_EEPKT0_PKT1_PKT2_PT3_21rocsparse_index_base_b.num_vgpr, 10
	.set _ZN9rocsparseL17coomvt_aos_kernelILj1024El21rocsparse_complex_numIfES2_S2_S2_EEv20rocsparse_operation_lNS_24const_host_device_scalarIT4_EEPKT0_PKT1_PKT2_PT3_21rocsparse_index_base_b.num_agpr, 0
	.set _ZN9rocsparseL17coomvt_aos_kernelILj1024El21rocsparse_complex_numIfES2_S2_S2_EEv20rocsparse_operation_lNS_24const_host_device_scalarIT4_EEPKT0_PKT1_PKT2_PT3_21rocsparse_index_base_b.numbered_sgpr, 20
	.set _ZN9rocsparseL17coomvt_aos_kernelILj1024El21rocsparse_complex_numIfES2_S2_S2_EEv20rocsparse_operation_lNS_24const_host_device_scalarIT4_EEPKT0_PKT1_PKT2_PT3_21rocsparse_index_base_b.num_named_barrier, 0
	.set _ZN9rocsparseL17coomvt_aos_kernelILj1024El21rocsparse_complex_numIfES2_S2_S2_EEv20rocsparse_operation_lNS_24const_host_device_scalarIT4_EEPKT0_PKT1_PKT2_PT3_21rocsparse_index_base_b.private_seg_size, 0
	.set _ZN9rocsparseL17coomvt_aos_kernelILj1024El21rocsparse_complex_numIfES2_S2_S2_EEv20rocsparse_operation_lNS_24const_host_device_scalarIT4_EEPKT0_PKT1_PKT2_PT3_21rocsparse_index_base_b.uses_vcc, 1
	.set _ZN9rocsparseL17coomvt_aos_kernelILj1024El21rocsparse_complex_numIfES2_S2_S2_EEv20rocsparse_operation_lNS_24const_host_device_scalarIT4_EEPKT0_PKT1_PKT2_PT3_21rocsparse_index_base_b.uses_flat_scratch, 0
	.set _ZN9rocsparseL17coomvt_aos_kernelILj1024El21rocsparse_complex_numIfES2_S2_S2_EEv20rocsparse_operation_lNS_24const_host_device_scalarIT4_EEPKT0_PKT1_PKT2_PT3_21rocsparse_index_base_b.has_dyn_sized_stack, 0
	.set _ZN9rocsparseL17coomvt_aos_kernelILj1024El21rocsparse_complex_numIfES2_S2_S2_EEv20rocsparse_operation_lNS_24const_host_device_scalarIT4_EEPKT0_PKT1_PKT2_PT3_21rocsparse_index_base_b.has_recursion, 0
	.set _ZN9rocsparseL17coomvt_aos_kernelILj1024El21rocsparse_complex_numIfES2_S2_S2_EEv20rocsparse_operation_lNS_24const_host_device_scalarIT4_EEPKT0_PKT1_PKT2_PT3_21rocsparse_index_base_b.has_indirect_call, 0
	.section	.AMDGPU.csdata,"",@progbits
; Kernel info:
; codeLenInByte = 408
; TotalNumSgprs: 22
; NumVgprs: 10
; ScratchSize: 0
; MemoryBound: 0
; FloatMode: 240
; IeeeMode: 1
; LDSByteSize: 0 bytes/workgroup (compile time only)
; SGPRBlocks: 0
; VGPRBlocks: 0
; NumSGPRsForWavesPerEU: 22
; NumVGPRsForWavesPerEU: 10
; NamedBarCnt: 0
; Occupancy: 16
; WaveLimiterHint : 1
; COMPUTE_PGM_RSRC2:SCRATCH_EN: 0
; COMPUTE_PGM_RSRC2:USER_SGPR: 2
; COMPUTE_PGM_RSRC2:TRAP_HANDLER: 0
; COMPUTE_PGM_RSRC2:TGID_X_EN: 1
; COMPUTE_PGM_RSRC2:TGID_Y_EN: 0
; COMPUTE_PGM_RSRC2:TGID_Z_EN: 0
; COMPUTE_PGM_RSRC2:TIDIG_COMP_CNT: 0
	.section	.text._ZN9rocsparseL26coomvn_aos_segmented_loopsILj256El21rocsparse_complex_numIfES2_S2_S2_EEvlT0_NS_24const_host_device_scalarIT4_EEPKS3_PKT1_PKT2_PT3_PS3_PS5_21rocsparse_index_base_b,"axG",@progbits,_ZN9rocsparseL26coomvn_aos_segmented_loopsILj256El21rocsparse_complex_numIfES2_S2_S2_EEvlT0_NS_24const_host_device_scalarIT4_EEPKS3_PKT1_PKT2_PT3_PS3_PS5_21rocsparse_index_base_b,comdat
	.globl	_ZN9rocsparseL26coomvn_aos_segmented_loopsILj256El21rocsparse_complex_numIfES2_S2_S2_EEvlT0_NS_24const_host_device_scalarIT4_EEPKS3_PKT1_PKT2_PT3_PS3_PS5_21rocsparse_index_base_b ; -- Begin function _ZN9rocsparseL26coomvn_aos_segmented_loopsILj256El21rocsparse_complex_numIfES2_S2_S2_EEvlT0_NS_24const_host_device_scalarIT4_EEPKS3_PKT1_PKT2_PT3_PS3_PS5_21rocsparse_index_base_b
	.p2align	8
	.type	_ZN9rocsparseL26coomvn_aos_segmented_loopsILj256El21rocsparse_complex_numIfES2_S2_S2_EEvlT0_NS_24const_host_device_scalarIT4_EEPKS3_PKT1_PKT2_PT3_PS3_PS5_21rocsparse_index_base_b,@function
_ZN9rocsparseL26coomvn_aos_segmented_loopsILj256El21rocsparse_complex_numIfES2_S2_S2_EEvlT0_NS_24const_host_device_scalarIT4_EEPKS3_PKT1_PKT2_PT3_PS3_PS5_21rocsparse_index_base_b: ; @_ZN9rocsparseL26coomvn_aos_segmented_loopsILj256El21rocsparse_complex_numIfES2_S2_S2_EEvlT0_NS_24const_host_device_scalarIT4_EEPKS3_PKT1_PKT2_PT3_PS3_PS5_21rocsparse_index_base_b
; %bb.0:
	s_clause 0x1
	s_load_b64 s[24:25], s[0:1], 0x48
	s_load_b64 s[2:3], s[0:1], 0x10
	v_mov_b32_e32 v1, 0
	s_add_nc_u64 s[4:5], s[0:1], 16
	s_mov_b32 s15, 0
	s_wait_kmcnt 0x0
	s_bitcmp1_b32 s25, 0
	s_cselect_b32 s3, s5, s3
	s_cselect_b32 s2, s4, s2
	flat_load_b64 v[2:3], v1, s[2:3]
	s_wait_loadcnt_dscnt 0x0
	v_cmp_neq_f32_e32 vcc_lo, 0, v2
	v_cmp_neq_f32_e64 s2, 0, v3
	s_or_b32 s2, vcc_lo, s2
	s_delay_alu instid0(SALU_CYCLE_1)
	s_and_saveexec_b32 s3, s2
	s_cbranch_execz .LBB22_87
; %bb.1:
	s_clause 0x1
	s_load_b128 s[16:19], s[0:1], 0x0
	s_load_b128 s[20:23], s[0:1], 0x18
	s_bfe_u32 s2, ttmp6, 0x4000c
	s_load_b64 s[28:29], s[0:1], 0x28
	s_add_co_i32 s2, s2, 1
	s_and_b32 s3, ttmp6, 15
	s_mul_i32 s2, ttmp9, s2
	s_getreg_b32 s4, hwreg(HW_REG_IB_STS2, 6, 4)
	s_add_co_i32 s3, s3, s2
	s_cmp_eq_u32 s4, 0
	v_mov_b64_e32 v[6:7], -1
	s_cselect_b32 s14, ttmp9, s3
	v_mov_b64_e32 v[8:9], 0
	s_wait_kmcnt 0x0
	s_mul_u64 s[30:31], s[14:15], s[18:19]
	s_delay_alu instid0(SALU_CYCLE_1) | instskip(NEXT) | instid1(SALU_CYCLE_1)
	s_lshl_b64 s[2:3], s[30:31], 8
	v_dual_mov_b32 v13, s3 :: v_dual_bitop2_b32 v12, s2, v0 bitop3:0x54
	s_mov_b32 s2, exec_lo
	s_delay_alu instid0(VALU_DEP_1)
	v_cmpx_gt_i64_e64 s[16:17], v[12:13]
	s_cbranch_execz .LBB22_3
; %bb.2:
	v_lshl_add_u64 v[4:5], v[12:13], 4, s[20:21]
	s_mov_b32 s25, 0
	global_load_b128 v[6:9], v[4:5], off th:TH_LOAD_NT
	s_wait_loadcnt 0x0
	v_lshl_add_u64 v[4:5], v[8:9], 3, s[28:29]
	v_sub_nc_u64_e64 v[6:7], v[6:7], s[24:25]
	s_ashr_i32 s25, s24, 31
	v_lshl_add_u64 v[8:9], v[12:13], 3, s[22:23]
	s_lshl_b64 s[4:5], s[24:25], 3
	s_delay_alu instid0(SALU_CYCLE_1) | instskip(SKIP_4) | instid1(VALU_DEP_1)
	v_sub_nc_u64_e64 v[4:5], v[4:5], s[4:5]
	global_load_b64 v[10:11], v[4:5], off
	global_load_b64 v[14:15], v[8:9], off th:TH_LOAD_NT
	s_wait_loadcnt 0x0
	v_pk_mul_f32 v[4:5], v[10:11], v[14:15] op_sel:[1,1] op_sel_hi:[1,0] neg_lo:[0,1]
	v_pk_fma_f32 v[8:9], v[14:15], v[10:11], v[4:5] op_sel_hi:[1,0,1]
.LBB22_3:
	s_or_b32 exec_lo, exec_lo, s2
	v_lshlrev_b32_e32 v4, 3, v0
	v_cmp_eq_u32_e64 s2, 0, v0
	v_cmp_ne_u32_e64 s3, 0, v0
	s_delay_alu instid0(VALU_DEP_3)
	v_or_b32_e32 v1, 0x800, v4
	v_add_nc_u32_e32 v20, -8, v4
	ds_store_2addr_stride64_b64 v4, v[6:7], v[8:9] offset1:4
	s_wait_dscnt 0x0
	s_barrier_signal -1
	s_barrier_wait -1
	s_and_saveexec_b32 s4, s3
	s_cbranch_execz .LBB22_7
; %bb.4:
	ds_load_b64 v[10:11], v20
	s_mov_b32 s5, exec_lo
	s_wait_dscnt 0x0
	v_cmpx_eq_u64_e64 v[6:7], v[10:11]
	s_cbranch_execz .LBB22_6
; %bb.5:
	v_add_nc_u32_e32 v5, -8, v1
	ds_load_b64 v[10:11], v5
	s_wait_dscnt 0x0
	v_pk_add_f32 v[8:9], v[8:9], v[10:11]
.LBB22_6:
	s_or_b32 exec_lo, exec_lo, s5
.LBB22_7:
	s_delay_alu instid0(SALU_CYCLE_1)
	s_or_b32 exec_lo, exec_lo, s4
	v_cmp_lt_u32_e64 s4, 1, v0
	v_add_nc_u32_e32 v21, -16, v4
	s_barrier_signal -1
	s_barrier_wait -1
	ds_store_b64 v1, v[8:9]
	s_wait_dscnt 0x0
	s_barrier_signal -1
	s_barrier_wait -1
	s_and_saveexec_b32 s5, s4
	s_cbranch_execz .LBB22_11
; %bb.8:
	ds_load_b64 v[10:11], v21
	s_mov_b32 s6, exec_lo
	s_wait_dscnt 0x0
	v_cmpx_eq_u64_e64 v[6:7], v[10:11]
	s_cbranch_execz .LBB22_10
; %bb.9:
	v_add_nc_u32_e32 v5, -16, v1
	ds_load_b64 v[10:11], v5
	s_wait_dscnt 0x0
	v_pk_add_f32 v[8:9], v[8:9], v[10:11]
.LBB22_10:
	s_or_b32 exec_lo, exec_lo, s6
.LBB22_11:
	s_delay_alu instid0(SALU_CYCLE_1)
	s_or_b32 exec_lo, exec_lo, s5
	v_cmp_lt_u32_e64 s5, 3, v0
	v_subrev_nc_u32_e32 v22, 32, v4
	s_barrier_signal -1
	s_barrier_wait -1
	ds_store_b64 v1, v[8:9]
	s_wait_dscnt 0x0
	s_barrier_signal -1
	s_barrier_wait -1
	s_and_saveexec_b32 s6, s5
	s_cbranch_execz .LBB22_15
; %bb.12:
	ds_load_b64 v[10:11], v22
	s_mov_b32 s7, exec_lo
	s_wait_dscnt 0x0
	v_cmpx_eq_u64_e64 v[6:7], v[10:11]
	s_cbranch_execz .LBB22_14
; %bb.13:
	v_subrev_nc_u32_e32 v5, 32, v1
	ds_load_b64 v[10:11], v5
	s_wait_dscnt 0x0
	v_pk_add_f32 v[8:9], v[8:9], v[10:11]
.LBB22_14:
	s_or_b32 exec_lo, exec_lo, s7
.LBB22_15:
	s_delay_alu instid0(SALU_CYCLE_1)
	s_or_b32 exec_lo, exec_lo, s6
	v_cmp_lt_u32_e64 s6, 7, v0
	v_subrev_nc_u32_e32 v23, 64, v4
	s_barrier_signal -1
	s_barrier_wait -1
	ds_store_b64 v1, v[8:9]
	s_wait_dscnt 0x0
	s_barrier_signal -1
	s_barrier_wait -1
	s_and_saveexec_b32 s7, s6
	s_cbranch_execz .LBB22_19
; %bb.16:
	ds_load_b64 v[10:11], v23
	s_mov_b32 s8, exec_lo
	s_wait_dscnt 0x0
	v_cmpx_eq_u64_e64 v[6:7], v[10:11]
	s_cbranch_execz .LBB22_18
; %bb.17:
	v_subrev_nc_u32_e32 v5, 64, v1
	ds_load_b64 v[10:11], v5
	s_wait_dscnt 0x0
	v_pk_add_f32 v[8:9], v[8:9], v[10:11]
.LBB22_18:
	s_or_b32 exec_lo, exec_lo, s8
.LBB22_19:
	s_delay_alu instid0(SALU_CYCLE_1)
	s_or_b32 exec_lo, exec_lo, s7
	v_cmp_lt_u32_e64 s7, 15, v0
	v_add_nc_u32_e32 v24, 0xffffff80, v4
	s_barrier_signal -1
	s_barrier_wait -1
	ds_store_b64 v1, v[8:9]
	s_wait_dscnt 0x0
	s_barrier_signal -1
	s_barrier_wait -1
	s_and_saveexec_b32 s8, s7
	s_cbranch_execz .LBB22_23
; %bb.20:
	ds_load_b64 v[10:11], v24
	s_mov_b32 s9, exec_lo
	s_wait_dscnt 0x0
	v_cmpx_eq_u64_e64 v[6:7], v[10:11]
	s_cbranch_execz .LBB22_22
; %bb.21:
	v_add_nc_u32_e32 v5, 0xffffff80, v1
	ds_load_b64 v[10:11], v5
	s_wait_dscnt 0x0
	v_pk_add_f32 v[8:9], v[8:9], v[10:11]
.LBB22_22:
	s_or_b32 exec_lo, exec_lo, s9
.LBB22_23:
	s_delay_alu instid0(SALU_CYCLE_1)
	s_or_b32 exec_lo, exec_lo, s8
	v_cmp_lt_u32_e64 s8, 31, v0
	v_add_nc_u32_e32 v25, 0xffffff00, v4
	s_barrier_signal -1
	s_barrier_wait -1
	ds_store_b64 v1, v[8:9]
	s_wait_dscnt 0x0
	s_barrier_signal -1
	s_barrier_wait -1
	s_and_saveexec_b32 s9, s8
	s_cbranch_execz .LBB22_27
; %bb.24:
	ds_load_b64 v[10:11], v25
	s_mov_b32 s10, exec_lo
	s_wait_dscnt 0x0
	v_cmpx_eq_u64_e64 v[6:7], v[10:11]
	s_cbranch_execz .LBB22_26
; %bb.25:
	v_add_nc_u32_e32 v5, 0xffffff00, v1
	ds_load_b64 v[10:11], v5
	s_wait_dscnt 0x0
	v_pk_add_f32 v[8:9], v[8:9], v[10:11]
.LBB22_26:
	s_or_b32 exec_lo, exec_lo, s10
.LBB22_27:
	;; [unrolled: 26-line block ×4, first 2 shown]
	s_delay_alu instid0(SALU_CYCLE_1)
	s_or_b32 exec_lo, exec_lo, s11
	s_load_b64 s[26:27], s[0:1], 0x30
	v_cmp_gt_u32_e64 s11, 0xff, v0
	s_barrier_signal -1
	s_barrier_wait -1
	ds_store_b64 v1, v[8:9]
	s_wait_dscnt 0x0
	s_barrier_signal -1
	s_barrier_wait -1
	s_and_saveexec_b32 s13, s11
	s_cbranch_execz .LBB22_38
; %bb.36:
	ds_load_b64 v[10:11], v4 offset:8
	v_cmp_lt_i64_e64 s12, -1, v[6:7]
	s_wait_dscnt 0x0
	v_cmp_ne_u64_e32 vcc_lo, v[6:7], v[10:11]
	s_and_b32 s12, s12, vcc_lo
	s_delay_alu instid0(SALU_CYCLE_1)
	s_and_b32 exec_lo, exec_lo, s12
	s_cbranch_execz .LBB22_38
; %bb.37:
	s_wait_kmcnt 0x0
	v_lshl_add_u64 v[10:11], v[6:7], 3, s[26:27]
	v_xor_b32_e32 v16, 0x80000000, v3
	v_mov_b32_e32 v17, v2
	global_load_b64 v[14:15], v[10:11], off
	s_wait_loadcnt 0x0
	v_pk_fma_f32 v[14:15], v[2:3], v[8:9], v[14:15] op_sel_hi:[1,0,1]
	s_delay_alu instid0(VALU_DEP_1)
	v_pk_fma_f32 v[14:15], v[16:17], v[8:9], v[14:15] op_sel:[0,1,0]
	global_store_b64 v[10:11], v[14:15], off
.LBB22_38:
	s_wait_xcnt 0x0
	s_or_b32 exec_lo, exec_lo, s13
	v_cmp_lt_i64_e64 s12, s[18:19], 2
	v_xor_b32_e32 v10, 0x80000000, v3
	s_and_b32 vcc_lo, exec_lo, s12
	s_cbranch_vccnz .LBB22_85
; %bb.39:
	v_dual_mov_b32 v5, 0 :: v_dual_add_nc_u32 v28, -8, v1
	v_dual_add_nc_u32 v29, -16, v1 :: v_dual_lshlrev_b32 v6, 4, v0
	s_lshl_b64 s[34:35], s[30:31], 11
	s_delay_alu instid0(VALU_DEP_2)
	v_dual_mov_b32 v7, v5 :: v_dual_add_nc_u32 v32, 0xffffff80, v1
	s_lshl_b64 s[30:31], s[30:31], 12
	s_add_nc_u64 s[22:23], s[22:23], s[34:35]
	s_add_nc_u64 s[20:21], s[20:21], s[30:31]
	v_add_nc_u64_e32 v[8:9], s[22:23], v[4:5]
	v_add_nc_u64_e32 v[6:7], s[20:21], v[6:7]
	;; [unrolled: 1-line block ×3, first 2 shown]
	s_ashr_i32 s13, s24, 31
	s_mov_b32 s12, s24
	v_subrev_nc_u32_e32 v30, 32, v1
	v_subrev_nc_u32_e32 v31, 64, v1
	v_add_nc_u64_e32 v[14:15], 0x800, v[8:9]
	v_add_nc_u64_e32 v[16:17], 0x1000, v[6:7]
	v_add_nc_u32_e32 v33, 0xffffff00, v1
	v_dual_mov_b32 v11, v2 :: v_dual_add_nc_u32 v34, 0xfffffe00, v1
	v_add_nc_u32_e32 v35, 0xfffffc00, v1
	s_lshl_b64 s[12:13], s[12:13], 3
	s_add_nc_u64 s[18:19], s[18:19], -1
	s_mov_b32 s25, 0
	s_sub_nc_u64 s[20:21], s[28:29], s[12:13]
	s_mov_b64 s[22:23], 0
	s_branch .LBB22_41
.LBB22_40:                              ;   in Loop: Header=BB22_41 Depth=1
	s_wait_xcnt 0x0
	s_or_b32 exec_lo, exec_lo, s13
	s_add_nc_u64 s[22:23], s[22:23], 1
	v_add_nc_u64_e32 v[14:15], 0x800, v[14:15]
	v_cmp_le_u64_e64 s12, s[18:19], s[22:23]
	v_add_nc_u64_e32 v[16:17], 0x1000, v[16:17]
	v_add_nc_u64_e32 v[12:13], 0x100, v[12:13]
	s_and_b32 vcc_lo, exec_lo, s12
	s_cbranch_vccnz .LBB22_85
.LBB22_41:                              ; =>This Inner Loop Header: Depth=1
	v_mov_b64_e32 v[6:7], -1
	v_mov_b64_e32 v[8:9], 0
	s_mov_b32 s12, exec_lo
	s_delay_alu instid0(VALU_DEP_3)
	v_cmpx_gt_i64_e64 s[16:17], v[12:13]
	s_cbranch_execz .LBB22_43
; %bb.42:                               ;   in Loop: Header=BB22_41 Depth=1
	global_load_b128 v[6:9], v[16:17], off th:TH_LOAD_NT
	s_wait_loadcnt 0x0
	v_lshl_add_u64 v[8:9], v[8:9], 3, s[20:21]
	v_sub_nc_u64_e64 v[6:7], v[6:7], s[24:25]
	global_load_b64 v[18:19], v[8:9], off
	global_load_b64 v[36:37], v[14:15], off th:TH_LOAD_NT
	s_wait_loadcnt 0x0
	s_wait_xcnt 0x1
	v_pk_mul_f32 v[8:9], v[18:19], v[36:37] op_sel:[1,1] op_sel_hi:[1,0] neg_lo:[0,1]
	s_delay_alu instid0(VALU_DEP_1)
	v_pk_fma_f32 v[8:9], v[36:37], v[18:19], v[8:9] op_sel_hi:[1,0,1]
.LBB22_43:                              ;   in Loop: Header=BB22_41 Depth=1
	s_wait_xcnt 0x0
	s_or_b32 exec_lo, exec_lo, s12
	s_and_saveexec_b32 s12, s2
	s_cbranch_execz .LBB22_50
; %bb.44:                               ;   in Loop: Header=BB22_41 Depth=1
	ds_load_b64 v[18:19], v5 offset:2040
	s_mov_b32 s13, exec_lo
	s_wait_dscnt 0x0
	v_cmpx_ne_u64_e64 v[6:7], v[18:19]
	s_xor_b32 s13, exec_lo, s13
	s_cbranch_execz .LBB22_47
; %bb.45:                               ;   in Loop: Header=BB22_41 Depth=1
	v_cmp_gt_i64_e32 vcc_lo, 0, v[18:19]
	s_cbranch_vccnz .LBB22_47
; %bb.46:                               ;   in Loop: Header=BB22_41 Depth=1
	v_lshlrev_b64_e32 v[18:19], 3, v[18:19]
	ds_load_b64 v[38:39], v5 offset:4088
	s_wait_kmcnt 0x0
	v_add_nc_u64_e32 v[18:19], s[26:27], v[18:19]
	global_load_b64 v[36:37], v[18:19], off
	s_wait_loadcnt_dscnt 0x0
	v_pk_fma_f32 v[36:37], v[2:3], v[38:39], v[36:37] op_sel_hi:[1,0,1]
	s_delay_alu instid0(VALU_DEP_1)
	v_pk_fma_f32 v[36:37], v[10:11], v[38:39], v[36:37] op_sel:[0,1,0]
	global_store_b64 v[18:19], v[36:37], off
.LBB22_47:                              ;   in Loop: Header=BB22_41 Depth=1
	s_wait_xcnt 0x0
	s_and_not1_saveexec_b32 s13, s13
	s_cbranch_execz .LBB22_49
; %bb.48:                               ;   in Loop: Header=BB22_41 Depth=1
	ds_load_b64 v[18:19], v5 offset:4088
	s_wait_dscnt 0x0
	v_pk_add_f32 v[8:9], v[8:9], v[18:19]
.LBB22_49:                              ;   in Loop: Header=BB22_41 Depth=1
	s_or_b32 exec_lo, exec_lo, s13
.LBB22_50:                              ;   in Loop: Header=BB22_41 Depth=1
	s_delay_alu instid0(SALU_CYCLE_1)
	s_or_b32 exec_lo, exec_lo, s12
	s_wait_storecnt 0x0
	s_barrier_signal -1
	s_barrier_wait -1
	ds_store_b64 v4, v[6:7]
	ds_store_b64 v1, v[8:9]
	s_wait_dscnt 0x0
	s_barrier_signal -1
	s_barrier_wait -1
	s_and_saveexec_b32 s12, s3
	s_cbranch_execz .LBB22_54
; %bb.51:                               ;   in Loop: Header=BB22_41 Depth=1
	ds_load_b64 v[18:19], v20
	s_mov_b32 s13, exec_lo
	s_wait_dscnt 0x0
	v_cmpx_eq_u64_e64 v[6:7], v[18:19]
	s_cbranch_execz .LBB22_53
; %bb.52:                               ;   in Loop: Header=BB22_41 Depth=1
	ds_load_b64 v[18:19], v28
	s_wait_dscnt 0x0
	v_pk_add_f32 v[8:9], v[8:9], v[18:19]
.LBB22_53:                              ;   in Loop: Header=BB22_41 Depth=1
	s_or_b32 exec_lo, exec_lo, s13
.LBB22_54:                              ;   in Loop: Header=BB22_41 Depth=1
	s_delay_alu instid0(SALU_CYCLE_1)
	s_or_b32 exec_lo, exec_lo, s12
	s_barrier_signal -1
	s_barrier_wait -1
	ds_store_b64 v1, v[8:9]
	s_wait_dscnt 0x0
	s_barrier_signal -1
	s_barrier_wait -1
	s_and_saveexec_b32 s12, s4
	s_cbranch_execz .LBB22_58
; %bb.55:                               ;   in Loop: Header=BB22_41 Depth=1
	ds_load_b64 v[18:19], v21
	s_mov_b32 s13, exec_lo
	s_wait_dscnt 0x0
	v_cmpx_eq_u64_e64 v[6:7], v[18:19]
	s_cbranch_execz .LBB22_57
; %bb.56:                               ;   in Loop: Header=BB22_41 Depth=1
	ds_load_b64 v[18:19], v29
	s_wait_dscnt 0x0
	v_pk_add_f32 v[8:9], v[8:9], v[18:19]
.LBB22_57:                              ;   in Loop: Header=BB22_41 Depth=1
	s_or_b32 exec_lo, exec_lo, s13
.LBB22_58:                              ;   in Loop: Header=BB22_41 Depth=1
	s_delay_alu instid0(SALU_CYCLE_1)
	s_or_b32 exec_lo, exec_lo, s12
	s_barrier_signal -1
	s_barrier_wait -1
	;; [unrolled: 23-line block ×8, first 2 shown]
	ds_store_b64 v1, v[8:9]
	s_wait_dscnt 0x0
	s_barrier_signal -1
	s_barrier_wait -1
	s_and_saveexec_b32 s13, s11
	s_cbranch_execz .LBB22_40
; %bb.83:                               ;   in Loop: Header=BB22_41 Depth=1
	ds_load_b64 v[18:19], v4 offset:8
	v_cmp_lt_i64_e64 s12, -1, v[6:7]
	s_wait_dscnt 0x0
	v_cmp_ne_u64_e32 vcc_lo, v[6:7], v[18:19]
	s_and_b32 s12, s12, vcc_lo
	s_delay_alu instid0(SALU_CYCLE_1)
	s_and_b32 exec_lo, exec_lo, s12
	s_cbranch_execz .LBB22_40
; %bb.84:                               ;   in Loop: Header=BB22_41 Depth=1
	s_wait_kmcnt 0x0
	v_lshl_add_u64 v[18:19], v[6:7], 3, s[26:27]
	global_load_b64 v[36:37], v[18:19], off
	s_wait_loadcnt 0x0
	v_pk_fma_f32 v[36:37], v[2:3], v[8:9], v[36:37] op_sel_hi:[1,0,1]
	s_delay_alu instid0(VALU_DEP_1)
	v_pk_fma_f32 v[36:37], v[10:11], v[8:9], v[36:37] op_sel:[0,1,0]
	global_store_b64 v[18:19], v[36:37], off
	s_branch .LBB22_40
.LBB22_85:
	s_load_b128 s[0:3], s[0:1], 0x38
	v_cmp_eq_u32_e32 vcc_lo, 0xff, v0
	s_and_b32 exec_lo, exec_lo, vcc_lo
	s_cbranch_execz .LBB22_87
; %bb.86:
	v_dual_mov_b32 v11, v2 :: v_dual_mov_b32 v4, 0
	s_lshl_b64 s[4:5], s[14:15], 3
	s_wait_kmcnt 0x0
	s_add_nc_u64 s[0:1], s[0:1], s[4:5]
	s_delay_alu instid0(VALU_DEP_1) | instskip(SKIP_1) | instid1(VALU_DEP_1)
	v_pk_mul_f32 v[0:1], v[8:9], v[10:11] op_sel:[1,0]
	s_add_nc_u64 s[2:3], s[2:3], s[4:5]
	v_pk_fma_f32 v[0:1], v[2:3], v[8:9], v[0:1] op_sel_hi:[1,0,1]
	s_clause 0x1
	global_store_b64 v4, v[6:7], s[0:1] th:TH_STORE_NT
	global_store_b64 v4, v[0:1], s[2:3] th:TH_STORE_NT
.LBB22_87:
	s_endpgm
	.section	.rodata,"a",@progbits
	.p2align	6, 0x0
	.amdhsa_kernel _ZN9rocsparseL26coomvn_aos_segmented_loopsILj256El21rocsparse_complex_numIfES2_S2_S2_EEvlT0_NS_24const_host_device_scalarIT4_EEPKS3_PKT1_PKT2_PT3_PS3_PS5_21rocsparse_index_base_b
		.amdhsa_group_segment_fixed_size 4096
		.amdhsa_private_segment_fixed_size 0
		.amdhsa_kernarg_size 80
		.amdhsa_user_sgpr_count 2
		.amdhsa_user_sgpr_dispatch_ptr 0
		.amdhsa_user_sgpr_queue_ptr 0
		.amdhsa_user_sgpr_kernarg_segment_ptr 1
		.amdhsa_user_sgpr_dispatch_id 0
		.amdhsa_user_sgpr_kernarg_preload_length 0
		.amdhsa_user_sgpr_kernarg_preload_offset 0
		.amdhsa_user_sgpr_private_segment_size 0
		.amdhsa_wavefront_size32 1
		.amdhsa_uses_dynamic_stack 0
		.amdhsa_enable_private_segment 0
		.amdhsa_system_sgpr_workgroup_id_x 1
		.amdhsa_system_sgpr_workgroup_id_y 0
		.amdhsa_system_sgpr_workgroup_id_z 0
		.amdhsa_system_sgpr_workgroup_info 0
		.amdhsa_system_vgpr_workitem_id 0
		.amdhsa_next_free_vgpr 40
		.amdhsa_next_free_sgpr 36
		.amdhsa_named_barrier_count 0
		.amdhsa_reserve_vcc 1
		.amdhsa_float_round_mode_32 0
		.amdhsa_float_round_mode_16_64 0
		.amdhsa_float_denorm_mode_32 3
		.amdhsa_float_denorm_mode_16_64 3
		.amdhsa_fp16_overflow 0
		.amdhsa_memory_ordered 1
		.amdhsa_forward_progress 1
		.amdhsa_inst_pref_size 24
		.amdhsa_round_robin_scheduling 0
		.amdhsa_exception_fp_ieee_invalid_op 0
		.amdhsa_exception_fp_denorm_src 0
		.amdhsa_exception_fp_ieee_div_zero 0
		.amdhsa_exception_fp_ieee_overflow 0
		.amdhsa_exception_fp_ieee_underflow 0
		.amdhsa_exception_fp_ieee_inexact 0
		.amdhsa_exception_int_div_zero 0
	.end_amdhsa_kernel
	.section	.text._ZN9rocsparseL26coomvn_aos_segmented_loopsILj256El21rocsparse_complex_numIfES2_S2_S2_EEvlT0_NS_24const_host_device_scalarIT4_EEPKS3_PKT1_PKT2_PT3_PS3_PS5_21rocsparse_index_base_b,"axG",@progbits,_ZN9rocsparseL26coomvn_aos_segmented_loopsILj256El21rocsparse_complex_numIfES2_S2_S2_EEvlT0_NS_24const_host_device_scalarIT4_EEPKS3_PKT1_PKT2_PT3_PS3_PS5_21rocsparse_index_base_b,comdat
.Lfunc_end22:
	.size	_ZN9rocsparseL26coomvn_aos_segmented_loopsILj256El21rocsparse_complex_numIfES2_S2_S2_EEvlT0_NS_24const_host_device_scalarIT4_EEPKS3_PKT1_PKT2_PT3_PS3_PS5_21rocsparse_index_base_b, .Lfunc_end22-_ZN9rocsparseL26coomvn_aos_segmented_loopsILj256El21rocsparse_complex_numIfES2_S2_S2_EEvlT0_NS_24const_host_device_scalarIT4_EEPKS3_PKT1_PKT2_PT3_PS3_PS5_21rocsparse_index_base_b
                                        ; -- End function
	.set _ZN9rocsparseL26coomvn_aos_segmented_loopsILj256El21rocsparse_complex_numIfES2_S2_S2_EEvlT0_NS_24const_host_device_scalarIT4_EEPKS3_PKT1_PKT2_PT3_PS3_PS5_21rocsparse_index_base_b.num_vgpr, 40
	.set _ZN9rocsparseL26coomvn_aos_segmented_loopsILj256El21rocsparse_complex_numIfES2_S2_S2_EEvlT0_NS_24const_host_device_scalarIT4_EEPKS3_PKT1_PKT2_PT3_PS3_PS5_21rocsparse_index_base_b.num_agpr, 0
	.set _ZN9rocsparseL26coomvn_aos_segmented_loopsILj256El21rocsparse_complex_numIfES2_S2_S2_EEvlT0_NS_24const_host_device_scalarIT4_EEPKS3_PKT1_PKT2_PT3_PS3_PS5_21rocsparse_index_base_b.numbered_sgpr, 36
	.set _ZN9rocsparseL26coomvn_aos_segmented_loopsILj256El21rocsparse_complex_numIfES2_S2_S2_EEvlT0_NS_24const_host_device_scalarIT4_EEPKS3_PKT1_PKT2_PT3_PS3_PS5_21rocsparse_index_base_b.num_named_barrier, 0
	.set _ZN9rocsparseL26coomvn_aos_segmented_loopsILj256El21rocsparse_complex_numIfES2_S2_S2_EEvlT0_NS_24const_host_device_scalarIT4_EEPKS3_PKT1_PKT2_PT3_PS3_PS5_21rocsparse_index_base_b.private_seg_size, 0
	.set _ZN9rocsparseL26coomvn_aos_segmented_loopsILj256El21rocsparse_complex_numIfES2_S2_S2_EEvlT0_NS_24const_host_device_scalarIT4_EEPKS3_PKT1_PKT2_PT3_PS3_PS5_21rocsparse_index_base_b.uses_vcc, 1
	.set _ZN9rocsparseL26coomvn_aos_segmented_loopsILj256El21rocsparse_complex_numIfES2_S2_S2_EEvlT0_NS_24const_host_device_scalarIT4_EEPKS3_PKT1_PKT2_PT3_PS3_PS5_21rocsparse_index_base_b.uses_flat_scratch, 0
	.set _ZN9rocsparseL26coomvn_aos_segmented_loopsILj256El21rocsparse_complex_numIfES2_S2_S2_EEvlT0_NS_24const_host_device_scalarIT4_EEPKS3_PKT1_PKT2_PT3_PS3_PS5_21rocsparse_index_base_b.has_dyn_sized_stack, 0
	.set _ZN9rocsparseL26coomvn_aos_segmented_loopsILj256El21rocsparse_complex_numIfES2_S2_S2_EEvlT0_NS_24const_host_device_scalarIT4_EEPKS3_PKT1_PKT2_PT3_PS3_PS5_21rocsparse_index_base_b.has_recursion, 0
	.set _ZN9rocsparseL26coomvn_aos_segmented_loopsILj256El21rocsparse_complex_numIfES2_S2_S2_EEvlT0_NS_24const_host_device_scalarIT4_EEPKS3_PKT1_PKT2_PT3_PS3_PS5_21rocsparse_index_base_b.has_indirect_call, 0
	.section	.AMDGPU.csdata,"",@progbits
; Kernel info:
; codeLenInByte = 2984
; TotalNumSgprs: 38
; NumVgprs: 40
; ScratchSize: 0
; MemoryBound: 0
; FloatMode: 240
; IeeeMode: 1
; LDSByteSize: 4096 bytes/workgroup (compile time only)
; SGPRBlocks: 0
; VGPRBlocks: 2
; NumSGPRsForWavesPerEU: 38
; NumVGPRsForWavesPerEU: 40
; NamedBarCnt: 0
; Occupancy: 16
; WaveLimiterHint : 1
; COMPUTE_PGM_RSRC2:SCRATCH_EN: 0
; COMPUTE_PGM_RSRC2:USER_SGPR: 2
; COMPUTE_PGM_RSRC2:TRAP_HANDLER: 0
; COMPUTE_PGM_RSRC2:TGID_X_EN: 1
; COMPUTE_PGM_RSRC2:TGID_Y_EN: 0
; COMPUTE_PGM_RSRC2:TGID_Z_EN: 0
; COMPUTE_PGM_RSRC2:TIDIG_COMP_CNT: 0
	.section	.text._ZN9rocsparseL29coomvn_segmented_loops_reduceILj256El21rocsparse_complex_numIfES2_EEvT0_NS_24const_host_device_scalarIT2_EEPKS3_PKS5_PT1_b,"axG",@progbits,_ZN9rocsparseL29coomvn_segmented_loops_reduceILj256El21rocsparse_complex_numIfES2_EEvT0_NS_24const_host_device_scalarIT2_EEPKS3_PKS5_PT1_b,comdat
	.globl	_ZN9rocsparseL29coomvn_segmented_loops_reduceILj256El21rocsparse_complex_numIfES2_EEvT0_NS_24const_host_device_scalarIT2_EEPKS3_PKS5_PT1_b ; -- Begin function _ZN9rocsparseL29coomvn_segmented_loops_reduceILj256El21rocsparse_complex_numIfES2_EEvT0_NS_24const_host_device_scalarIT2_EEPKS3_PKS5_PT1_b
	.p2align	8
	.type	_ZN9rocsparseL29coomvn_segmented_loops_reduceILj256El21rocsparse_complex_numIfES2_EEvT0_NS_24const_host_device_scalarIT2_EEPKS3_PKS5_PT1_b,@function
_ZN9rocsparseL29coomvn_segmented_loops_reduceILj256El21rocsparse_complex_numIfES2_EEvT0_NS_24const_host_device_scalarIT2_EEPKS3_PKS5_PT1_b: ; @_ZN9rocsparseL29coomvn_segmented_loops_reduceILj256El21rocsparse_complex_numIfES2_EEvT0_NS_24const_host_device_scalarIT2_EEPKS3_PKS5_PT1_b
; %bb.0:
	s_clause 0x1
	s_load_b32 s8, s[0:1], 0x28
	s_load_b128 s[4:7], s[0:1], 0x0
	v_mov_b32_e32 v1, 0
	s_or_b64 s[2:3], s[0:1], 8
	s_wait_kmcnt 0x0
	s_bitcmp1_b32 s8, 0
	s_cselect_b32 s3, s3, s7
	s_cselect_b32 s2, s2, s6
	flat_load_b64 v[2:3], v1, s[2:3]
	s_wait_loadcnt_dscnt 0x0
	v_cmp_neq_f32_e32 vcc_lo, 0, v2
	v_cmp_neq_f32_e64 s2, 0, v3
	s_or_b32 s2, vcc_lo, s2
	s_delay_alu instid0(SALU_CYCLE_1)
	s_and_saveexec_b32 s3, s2
	s_cbranch_execz .LBB23_42
; %bb.1:
	v_cmp_lt_i64_e64 s2, s[4:5], 1
	s_and_b32 vcc_lo, exec_lo, s2
	s_cbranch_vccnz .LBB23_42
; %bb.2:
	s_clause 0x1
	s_load_b128 s[8:11], s[0:1], 0x10
	s_load_b64 s[2:3], s[0:1], 0x20
	s_wait_xcnt 0x0
	v_sub_co_u32 v3, s0, v0, 1
	s_xor_b32 s12, s0, -1
	v_sub_co_u32 v4, s0, v0, 2
	v_lshl_add_u32 v14, v3, 3, 0x800
	s_xor_b32 s13, s0, -1
	v_sub_co_u32 v3, s0, v0, 4
	s_delay_alu instid0(VALU_DEP_3) | instskip(SKIP_2) | instid1(VALU_DEP_3)
	v_lshl_add_u32 v16, v4, 3, 0x800
	s_xor_b32 s14, s0, -1
	v_sub_co_u32 v4, s0, v0, 8
	v_lshl_add_u32 v18, v3, 3, 0x800
	s_xor_b32 s15, s0, -1
	v_sub_co_u32 v3, s0, v0, 16
	v_dual_mov_b32 v1, 0 :: v_dual_lshlrev_b32 v2, 3, v0
	v_lshl_add_u32 v20, v4, 3, 0x800
	s_xor_b32 s16, s0, -1
	v_sub_co_u32 v4, s0, v0, 32
	v_lshl_add_u32 v22, v3, 3, 0x800
	v_mov_b32_e32 v3, v1
	v_subrev_co_u32 v8, s6, 0x80, v0
	s_delay_alu instid0(VALU_DEP_4)
	v_lshl_add_u32 v24, v4, 3, 0x800
	v_sub_co_u32 v4, s1, v0, 64
	s_wait_kmcnt 0x0
	v_add_nc_u64_e32 v[6:7], s[8:9], v[2:3]
	v_or_b32_e32 v12, 0x800, v2
	v_dual_add_nc_u32 v13, -8, v2 :: v_dual_add_nc_u32 v15, -16, v2
	v_lshl_add_u32 v26, v4, 3, 0x800
	v_add_nc_u64_e32 v[4:5], s[10:11], v[2:3]
	v_subrev_nc_u32_e32 v17, 32, v2
	v_subrev_nc_u32_e32 v19, 64, v2
	v_add_nc_u32_e32 v21, 0xffffff80, v2
	s_xor_b32 s17, s0, -1
	v_add_nc_u32_e32 v23, 0xffffff00, v2
	v_add_nc_u32_e32 v25, 0xfffffe00, v2
	;; [unrolled: 1-line block ×3, first 2 shown]
	v_lshl_add_u32 v3, v8, 3, 0x800
	v_cmp_gt_u32_e64 s0, 0xff, v0
	s_xor_b32 s8, s1, -1
	s_xor_b32 s9, s6, -1
	s_mov_b64 s[6:7], 0
	s_branch .LBB23_4
.LBB23_3:                               ;   in Loop: Header=BB23_4 Depth=1
	s_wait_xcnt 0x0
	s_or_b32 exec_lo, exec_lo, s1
	s_add_nc_u64 s[6:7], s[6:7], 0x100
	v_add_nc_u64_e32 v[4:5], 0x800, v[4:5]
	v_cmp_lt_i64_e64 s1, s[6:7], s[4:5]
	v_add_nc_u64_e32 v[6:7], 0x800, v[6:7]
	s_wait_storecnt 0x0
	s_barrier_signal -1
	s_barrier_wait -1
	s_and_b32 vcc_lo, exec_lo, s1
	s_cbranch_vccz .LBB23_42
.LBB23_4:                               ; =>This Inner Loop Header: Depth=1
	v_add_nc_u64_e32 v[8:9], s[6:7], v[0:1]
	v_dual_mov_b32 v10, 0 :: v_dual_mov_b32 v11, 0
	s_delay_alu instid0(VALU_DEP_2)
	v_cmp_gt_i64_e32 vcc_lo, s[4:5], v[8:9]
	v_mov_b64_e32 v[8:9], -1
	s_and_saveexec_b32 s1, vcc_lo
	s_cbranch_execz .LBB23_6
; %bb.5:                                ;   in Loop: Header=BB23_4 Depth=1
	global_load_b64 v[8:9], v[6:7], off
	global_load_b64 v[10:11], v[4:5], off
.LBB23_6:                               ;   in Loop: Header=BB23_4 Depth=1
	s_wait_xcnt 0x0
	s_or_b32 exec_lo, exec_lo, s1
	s_wait_loadcnt 0x1
	ds_store_b64 v2, v[8:9]
	s_wait_loadcnt 0x0
	ds_store_b64 v12, v[10:11]
	v_dual_mov_b32 v8, 0 :: v_dual_mov_b32 v10, 0
	v_mov_b32_e32 v11, 0
	s_wait_dscnt 0x0
	s_barrier_signal -1
	s_barrier_wait -1
	s_and_saveexec_b32 s1, s12
	s_cbranch_execz .LBB23_10
; %bb.7:                                ;   in Loop: Header=BB23_4 Depth=1
	ds_load_2addr_b64 v[28:31], v13 offset1:1
	v_dual_mov_b32 v11, 0 :: v_dual_mov_b32 v10, 0
	s_mov_b32 s10, exec_lo
	s_wait_dscnt 0x0
	v_cmpx_eq_u64_e64 v[30:31], v[28:29]
; %bb.8:                                ;   in Loop: Header=BB23_4 Depth=1
	ds_load_b64 v[10:11], v14
; %bb.9:                                ;   in Loop: Header=BB23_4 Depth=1
	s_or_b32 exec_lo, exec_lo, s10
.LBB23_10:                              ;   in Loop: Header=BB23_4 Depth=1
	s_delay_alu instid0(SALU_CYCLE_1)
	s_or_b32 exec_lo, exec_lo, s1
	s_wait_dscnt 0x0
	s_barrier_signal -1
	s_barrier_wait -1
	ds_load_b64 v[28:29], v12
	v_mov_b32_e32 v9, 0
	s_wait_dscnt 0x0
	v_pk_add_f32 v[10:11], v[10:11], v[28:29]
	ds_store_b64 v12, v[10:11]
	s_wait_dscnt 0x0
	s_barrier_signal -1
	s_barrier_wait -1
	s_and_saveexec_b32 s1, s13
	s_cbranch_execz .LBB23_14
; %bb.11:                               ;   in Loop: Header=BB23_4 Depth=1
	ds_load_b64 v[8:9], v2
	ds_load_b64 v[10:11], v15
	s_wait_dscnt 0x0
	v_cmp_eq_u64_e32 vcc_lo, v[8:9], v[10:11]
	v_dual_mov_b32 v9, 0 :: v_dual_mov_b32 v8, 0
	s_and_saveexec_b32 s10, vcc_lo
; %bb.12:                               ;   in Loop: Header=BB23_4 Depth=1
	ds_load_b64 v[8:9], v16
; %bb.13:                               ;   in Loop: Header=BB23_4 Depth=1
	s_or_b32 exec_lo, exec_lo, s10
.LBB23_14:                              ;   in Loop: Header=BB23_4 Depth=1
	s_delay_alu instid0(SALU_CYCLE_1)
	s_or_b32 exec_lo, exec_lo, s1
	s_wait_dscnt 0x0
	s_barrier_signal -1
	s_barrier_wait -1
	ds_load_b64 v[10:11], v12
	s_wait_dscnt 0x0
	v_pk_add_f32 v[28:29], v[8:9], v[10:11]
	v_dual_mov_b32 v8, 0 :: v_dual_mov_b32 v10, 0
	v_mov_b32_e32 v11, 0
	ds_store_b64 v12, v[28:29]
	s_wait_dscnt 0x0
	s_barrier_signal -1
	s_barrier_wait -1
	s_and_saveexec_b32 s1, s14
	s_cbranch_execz .LBB23_18
; %bb.15:                               ;   in Loop: Header=BB23_4 Depth=1
	ds_load_b64 v[10:11], v2
	ds_load_b64 v[28:29], v17
	s_wait_dscnt 0x0
	v_cmp_eq_u64_e32 vcc_lo, v[10:11], v[28:29]
	v_dual_mov_b32 v11, 0 :: v_dual_mov_b32 v10, 0
	s_and_saveexec_b32 s10, vcc_lo
; %bb.16:                               ;   in Loop: Header=BB23_4 Depth=1
	ds_load_b64 v[10:11], v18
; %bb.17:                               ;   in Loop: Header=BB23_4 Depth=1
	s_or_b32 exec_lo, exec_lo, s10
.LBB23_18:                              ;   in Loop: Header=BB23_4 Depth=1
	s_delay_alu instid0(SALU_CYCLE_1)
	s_or_b32 exec_lo, exec_lo, s1
	s_wait_dscnt 0x0
	s_barrier_signal -1
	s_barrier_wait -1
	ds_load_b64 v[28:29], v12
	v_mov_b32_e32 v9, 0
	s_wait_dscnt 0x0
	v_pk_add_f32 v[10:11], v[10:11], v[28:29]
	ds_store_b64 v12, v[10:11]
	s_wait_dscnt 0x0
	s_barrier_signal -1
	s_barrier_wait -1
	s_and_saveexec_b32 s1, s15
	s_cbranch_execz .LBB23_22
; %bb.19:                               ;   in Loop: Header=BB23_4 Depth=1
	ds_load_b64 v[8:9], v2
	ds_load_b64 v[10:11], v19
	s_wait_dscnt 0x0
	v_cmp_eq_u64_e32 vcc_lo, v[8:9], v[10:11]
	v_dual_mov_b32 v9, 0 :: v_dual_mov_b32 v8, 0
	s_and_saveexec_b32 s10, vcc_lo
; %bb.20:                               ;   in Loop: Header=BB23_4 Depth=1
	ds_load_b64 v[8:9], v20
; %bb.21:                               ;   in Loop: Header=BB23_4 Depth=1
	s_or_b32 exec_lo, exec_lo, s10
.LBB23_22:                              ;   in Loop: Header=BB23_4 Depth=1
	s_delay_alu instid0(SALU_CYCLE_1)
	s_or_b32 exec_lo, exec_lo, s1
	s_wait_dscnt 0x0
	s_barrier_signal -1
	s_barrier_wait -1
	ds_load_b64 v[10:11], v12
	s_wait_dscnt 0x0
	v_pk_add_f32 v[28:29], v[8:9], v[10:11]
	v_dual_mov_b32 v8, 0 :: v_dual_mov_b32 v10, 0
	v_mov_b32_e32 v11, 0
	ds_store_b64 v12, v[28:29]
	s_wait_dscnt 0x0
	s_barrier_signal -1
	s_barrier_wait -1
	s_and_saveexec_b32 s1, s16
	s_cbranch_execz .LBB23_26
; %bb.23:                               ;   in Loop: Header=BB23_4 Depth=1
	ds_load_b64 v[10:11], v2
	ds_load_b64 v[28:29], v21
	s_wait_dscnt 0x0
	v_cmp_eq_u64_e32 vcc_lo, v[10:11], v[28:29]
	v_dual_mov_b32 v11, 0 :: v_dual_mov_b32 v10, 0
	s_and_saveexec_b32 s10, vcc_lo
; %bb.24:                               ;   in Loop: Header=BB23_4 Depth=1
	ds_load_b64 v[10:11], v22
; %bb.25:                               ;   in Loop: Header=BB23_4 Depth=1
	s_or_b32 exec_lo, exec_lo, s10
.LBB23_26:                              ;   in Loop: Header=BB23_4 Depth=1
	;; [unrolled: 55-line block ×3, first 2 shown]
	s_delay_alu instid0(SALU_CYCLE_1)
	s_or_b32 exec_lo, exec_lo, s1
	s_wait_dscnt 0x0
	s_barrier_signal -1
	s_barrier_wait -1
	ds_load_b64 v[28:29], v12
	v_mov_b32_e32 v9, 0
	s_wait_dscnt 0x0
	v_pk_add_f32 v[10:11], v[10:11], v[28:29]
	ds_store_b64 v12, v[10:11]
	s_wait_dscnt 0x0
	s_barrier_signal -1
	s_barrier_wait -1
	s_and_saveexec_b32 s1, s9
	s_cbranch_execz .LBB23_38
; %bb.35:                               ;   in Loop: Header=BB23_4 Depth=1
	ds_load_b64 v[8:9], v2
	ds_load_b64 v[10:11], v27
	s_wait_dscnt 0x0
	v_cmp_eq_u64_e32 vcc_lo, v[8:9], v[10:11]
	v_dual_mov_b32 v9, 0 :: v_dual_mov_b32 v8, 0
	s_and_saveexec_b32 s10, vcc_lo
; %bb.36:                               ;   in Loop: Header=BB23_4 Depth=1
	ds_load_b64 v[8:9], v3
; %bb.37:                               ;   in Loop: Header=BB23_4 Depth=1
	s_or_b32 exec_lo, exec_lo, s10
.LBB23_38:                              ;   in Loop: Header=BB23_4 Depth=1
	s_delay_alu instid0(SALU_CYCLE_1)
	s_or_b32 exec_lo, exec_lo, s1
	s_wait_dscnt 0x0
	s_barrier_signal -1
	s_barrier_wait -1
	ds_load_b64 v[10:11], v12
	s_wait_dscnt 0x0
	v_pk_add_f32 v[8:9], v[8:9], v[10:11]
	v_mov_b64_e32 v[10:11], -1
	ds_store_b64 v12, v[8:9]
	s_wait_dscnt 0x0
	s_barrier_signal -1
	s_barrier_wait -1
	ds_load_b64 v[8:9], v2
	s_and_saveexec_b32 s1, s0
; %bb.39:                               ;   in Loop: Header=BB23_4 Depth=1
	ds_load_b64 v[10:11], v2 offset:8
; %bb.40:                               ;   in Loop: Header=BB23_4 Depth=1
	s_or_b32 exec_lo, exec_lo, s1
	s_wait_dscnt 0x0
	v_cmp_ne_u64_e32 vcc_lo, v[8:9], v[10:11]
	v_cmp_lt_i64_e64 s1, -1, v[8:9]
	s_and_b32 s10, s1, vcc_lo
	s_delay_alu instid0(SALU_CYCLE_1)
	s_and_saveexec_b32 s1, s10
	s_cbranch_execz .LBB23_3
; %bb.41:                               ;   in Loop: Header=BB23_4 Depth=1
	v_lshl_add_u64 v[8:9], v[8:9], 3, s[2:3]
	ds_load_b64 v[28:29], v12
	global_load_b64 v[10:11], v[8:9], off
	s_wait_loadcnt_dscnt 0x0
	v_pk_add_f32 v[10:11], v[28:29], v[10:11]
	global_store_b64 v[8:9], v[10:11], off
	s_branch .LBB23_3
.LBB23_42:
	s_endpgm
	.section	.rodata,"a",@progbits
	.p2align	6, 0x0
	.amdhsa_kernel _ZN9rocsparseL29coomvn_segmented_loops_reduceILj256El21rocsparse_complex_numIfES2_EEvT0_NS_24const_host_device_scalarIT2_EEPKS3_PKS5_PT1_b
		.amdhsa_group_segment_fixed_size 4096
		.amdhsa_private_segment_fixed_size 0
		.amdhsa_kernarg_size 44
		.amdhsa_user_sgpr_count 2
		.amdhsa_user_sgpr_dispatch_ptr 0
		.amdhsa_user_sgpr_queue_ptr 0
		.amdhsa_user_sgpr_kernarg_segment_ptr 1
		.amdhsa_user_sgpr_dispatch_id 0
		.amdhsa_user_sgpr_kernarg_preload_length 0
		.amdhsa_user_sgpr_kernarg_preload_offset 0
		.amdhsa_user_sgpr_private_segment_size 0
		.amdhsa_wavefront_size32 1
		.amdhsa_uses_dynamic_stack 0
		.amdhsa_enable_private_segment 0
		.amdhsa_system_sgpr_workgroup_id_x 1
		.amdhsa_system_sgpr_workgroup_id_y 0
		.amdhsa_system_sgpr_workgroup_id_z 0
		.amdhsa_system_sgpr_workgroup_info 0
		.amdhsa_system_vgpr_workitem_id 0
		.amdhsa_next_free_vgpr 32
		.amdhsa_next_free_sgpr 18
		.amdhsa_named_barrier_count 0
		.amdhsa_reserve_vcc 1
		.amdhsa_float_round_mode_32 0
		.amdhsa_float_round_mode_16_64 0
		.amdhsa_float_denorm_mode_32 3
		.amdhsa_float_denorm_mode_16_64 3
		.amdhsa_fp16_overflow 0
		.amdhsa_memory_ordered 1
		.amdhsa_forward_progress 1
		.amdhsa_inst_pref_size 14
		.amdhsa_round_robin_scheduling 0
		.amdhsa_exception_fp_ieee_invalid_op 0
		.amdhsa_exception_fp_denorm_src 0
		.amdhsa_exception_fp_ieee_div_zero 0
		.amdhsa_exception_fp_ieee_overflow 0
		.amdhsa_exception_fp_ieee_underflow 0
		.amdhsa_exception_fp_ieee_inexact 0
		.amdhsa_exception_int_div_zero 0
	.end_amdhsa_kernel
	.section	.text._ZN9rocsparseL29coomvn_segmented_loops_reduceILj256El21rocsparse_complex_numIfES2_EEvT0_NS_24const_host_device_scalarIT2_EEPKS3_PKS5_PT1_b,"axG",@progbits,_ZN9rocsparseL29coomvn_segmented_loops_reduceILj256El21rocsparse_complex_numIfES2_EEvT0_NS_24const_host_device_scalarIT2_EEPKS3_PKS5_PT1_b,comdat
.Lfunc_end23:
	.size	_ZN9rocsparseL29coomvn_segmented_loops_reduceILj256El21rocsparse_complex_numIfES2_EEvT0_NS_24const_host_device_scalarIT2_EEPKS3_PKS5_PT1_b, .Lfunc_end23-_ZN9rocsparseL29coomvn_segmented_loops_reduceILj256El21rocsparse_complex_numIfES2_EEvT0_NS_24const_host_device_scalarIT2_EEPKS3_PKS5_PT1_b
                                        ; -- End function
	.set _ZN9rocsparseL29coomvn_segmented_loops_reduceILj256El21rocsparse_complex_numIfES2_EEvT0_NS_24const_host_device_scalarIT2_EEPKS3_PKS5_PT1_b.num_vgpr, 32
	.set _ZN9rocsparseL29coomvn_segmented_loops_reduceILj256El21rocsparse_complex_numIfES2_EEvT0_NS_24const_host_device_scalarIT2_EEPKS3_PKS5_PT1_b.num_agpr, 0
	.set _ZN9rocsparseL29coomvn_segmented_loops_reduceILj256El21rocsparse_complex_numIfES2_EEvT0_NS_24const_host_device_scalarIT2_EEPKS3_PKS5_PT1_b.numbered_sgpr, 18
	.set _ZN9rocsparseL29coomvn_segmented_loops_reduceILj256El21rocsparse_complex_numIfES2_EEvT0_NS_24const_host_device_scalarIT2_EEPKS3_PKS5_PT1_b.num_named_barrier, 0
	.set _ZN9rocsparseL29coomvn_segmented_loops_reduceILj256El21rocsparse_complex_numIfES2_EEvT0_NS_24const_host_device_scalarIT2_EEPKS3_PKS5_PT1_b.private_seg_size, 0
	.set _ZN9rocsparseL29coomvn_segmented_loops_reduceILj256El21rocsparse_complex_numIfES2_EEvT0_NS_24const_host_device_scalarIT2_EEPKS3_PKS5_PT1_b.uses_vcc, 1
	.set _ZN9rocsparseL29coomvn_segmented_loops_reduceILj256El21rocsparse_complex_numIfES2_EEvT0_NS_24const_host_device_scalarIT2_EEPKS3_PKS5_PT1_b.uses_flat_scratch, 0
	.set _ZN9rocsparseL29coomvn_segmented_loops_reduceILj256El21rocsparse_complex_numIfES2_EEvT0_NS_24const_host_device_scalarIT2_EEPKS3_PKS5_PT1_b.has_dyn_sized_stack, 0
	.set _ZN9rocsparseL29coomvn_segmented_loops_reduceILj256El21rocsparse_complex_numIfES2_EEvT0_NS_24const_host_device_scalarIT2_EEPKS3_PKS5_PT1_b.has_recursion, 0
	.set _ZN9rocsparseL29coomvn_segmented_loops_reduceILj256El21rocsparse_complex_numIfES2_EEvT0_NS_24const_host_device_scalarIT2_EEPKS3_PKS5_PT1_b.has_indirect_call, 0
	.section	.AMDGPU.csdata,"",@progbits
; Kernel info:
; codeLenInByte = 1720
; TotalNumSgprs: 20
; NumVgprs: 32
; ScratchSize: 0
; MemoryBound: 0
; FloatMode: 240
; IeeeMode: 1
; LDSByteSize: 4096 bytes/workgroup (compile time only)
; SGPRBlocks: 0
; VGPRBlocks: 1
; NumSGPRsForWavesPerEU: 20
; NumVGPRsForWavesPerEU: 32
; NamedBarCnt: 0
; Occupancy: 16
; WaveLimiterHint : 0
; COMPUTE_PGM_RSRC2:SCRATCH_EN: 0
; COMPUTE_PGM_RSRC2:USER_SGPR: 2
; COMPUTE_PGM_RSRC2:TRAP_HANDLER: 0
; COMPUTE_PGM_RSRC2:TGID_X_EN: 1
; COMPUTE_PGM_RSRC2:TGID_Y_EN: 0
; COMPUTE_PGM_RSRC2:TGID_Z_EN: 0
; COMPUTE_PGM_RSRC2:TIDIG_COMP_CNT: 0
	.section	.text._ZN9rocsparseL23coomvn_aos_atomic_loopsILj256ELj1Ei21rocsparse_complex_numIdES2_S2_S2_EEvlNS_24const_host_device_scalarIT5_EEPKT1_PKT2_PKT3_PT4_21rocsparse_index_base_b,"axG",@progbits,_ZN9rocsparseL23coomvn_aos_atomic_loopsILj256ELj1Ei21rocsparse_complex_numIdES2_S2_S2_EEvlNS_24const_host_device_scalarIT5_EEPKT1_PKT2_PKT3_PT4_21rocsparse_index_base_b,comdat
	.globl	_ZN9rocsparseL23coomvn_aos_atomic_loopsILj256ELj1Ei21rocsparse_complex_numIdES2_S2_S2_EEvlNS_24const_host_device_scalarIT5_EEPKT1_PKT2_PKT3_PT4_21rocsparse_index_base_b ; -- Begin function _ZN9rocsparseL23coomvn_aos_atomic_loopsILj256ELj1Ei21rocsparse_complex_numIdES2_S2_S2_EEvlNS_24const_host_device_scalarIT5_EEPKT1_PKT2_PKT3_PT4_21rocsparse_index_base_b
	.p2align	8
	.type	_ZN9rocsparseL23coomvn_aos_atomic_loopsILj256ELj1Ei21rocsparse_complex_numIdES2_S2_S2_EEvlNS_24const_host_device_scalarIT5_EEPKT1_PKT2_PKT3_PT4_21rocsparse_index_base_b,@function
_ZN9rocsparseL23coomvn_aos_atomic_loopsILj256ELj1Ei21rocsparse_complex_numIdES2_S2_S2_EEvlNS_24const_host_device_scalarIT5_EEPKT1_PKT2_PKT3_PT4_21rocsparse_index_base_b: ; @_ZN9rocsparseL23coomvn_aos_atomic_loopsILj256ELj1Ei21rocsparse_complex_numIdES2_S2_S2_EEvlNS_24const_host_device_scalarIT5_EEPKT1_PKT2_PKT3_PT4_21rocsparse_index_base_b
; %bb.0:
	s_clause 0x1
	s_load_b64 s[8:9], s[0:1], 0x38
	s_load_b128 s[4:7], s[0:1], 0x0
	v_mov_b32_e32 v13, 0
	s_or_b64 s[2:3], s[0:1], 8
	s_wait_kmcnt 0x0
	s_bitcmp1_b32 s9, 0
	s_cselect_b32 s3, s3, s7
	s_cselect_b32 s2, s2, s6
	flat_load_b128 v[2:5], v13, s[2:3]
	s_wait_loadcnt_dscnt 0x0
	v_cmp_neq_f64_e32 vcc_lo, 0, v[2:3]
	v_cmp_neq_f64_e64 s2, 0, v[4:5]
	s_or_b32 s2, vcc_lo, s2
	s_delay_alu instid0(SALU_CYCLE_1)
	s_and_saveexec_b32 s3, s2
	s_cbranch_execz .LBB24_40
; %bb.1:
	s_bfe_u32 s2, ttmp6, 0x4000c
	v_mov_b64_e32 v[6:7], 0
	s_add_co_i32 s2, s2, 1
	s_and_b32 s3, ttmp6, 15
	s_mul_i32 s2, ttmp9, s2
	s_getreg_b32 s6, hwreg(HW_REG_IB_STS2, 6, 4)
	s_add_co_i32 s3, s3, s2
	s_cmp_eq_u32 s6, 0
	v_mov_b64_e32 v[8:9], v[6:7]
	s_cselect_b32 s2, ttmp9, s3
	v_mov_b32_e32 v10, -1
	v_lshl_or_b32 v12, s2, 8, v0
	s_mov_b32 s2, exec_lo
	s_delay_alu instid0(VALU_DEP_1)
	v_cmpx_gt_i64_e64 s[4:5], v[12:13]
	s_cbranch_execz .LBB24_3
; %bb.2:
	s_clause 0x1
	s_load_b128 s[4:7], s[0:1], 0x18
	s_load_b64 s[10:11], s[0:1], 0x28
	s_wait_kmcnt 0x0
	v_lshl_add_u64 v[6:7], v[12:13], 3, s[4:5]
	global_load_b64 v[18:19], v[6:7], off th:TH_LOAD_NT
	s_wait_xcnt 0x0
	v_lshl_add_u64 v[6:7], v[12:13], 4, s[6:7]
	s_wait_loadcnt 0x0
	v_subrev_nc_u32_e32 v1, s8, v19
	global_load_b128 v[10:13], v[6:7], off th:TH_LOAD_NT
	global_load_b128 v[14:17], v1, s[10:11] scale_offset
	s_wait_loadcnt 0x0
	v_mul_f64_e64 v[6:7], v[16:17], -v[12:13]
	v_mul_f64_e32 v[8:9], v[10:11], v[16:17]
	s_delay_alu instid0(VALU_DEP_2) | instskip(NEXT) | instid1(VALU_DEP_2)
	v_fmac_f64_e32 v[6:7], v[10:11], v[14:15]
	v_fmac_f64_e32 v[8:9], v[12:13], v[14:15]
	v_subrev_nc_u32_e32 v10, s8, v18
.LBB24_3:
	s_or_b32 exec_lo, exec_lo, s2
	v_dual_lshlrev_b32 v12, 2, v0 :: v_dual_lshlrev_b32 v11, 4, v0
	s_mov_b32 s2, exec_lo
	ds_store_b32 v12, v10 offset:4096
	ds_store_b128 v11, v[6:9]
	v_or_b32_e32 v1, 0x1000, v12
	s_wait_dscnt 0x0
	s_barrier_signal -1
	s_barrier_wait -1
	v_cmpx_ne_u32_e32 0, v0
	s_cbranch_execz .LBB24_7
; %bb.4:
	v_add_nc_u32_e32 v12, -4, v1
	s_mov_b32 s3, exec_lo
	ds_load_b32 v12, v12
	s_wait_dscnt 0x0
	v_cmpx_eq_u32_e64 v10, v12
	s_cbranch_execz .LBB24_6
; %bb.5:
	v_add_nc_u32_e32 v12, -16, v11
	ds_load_b128 v[12:15], v12
	s_wait_dscnt 0x0
	v_add_f64_e32 v[6:7], v[6:7], v[12:13]
	v_add_f64_e32 v[8:9], v[8:9], v[14:15]
.LBB24_6:
	s_or_b32 exec_lo, exec_lo, s3
.LBB24_7:
	s_delay_alu instid0(SALU_CYCLE_1) | instskip(NEXT) | instid1(SALU_CYCLE_1)
	s_or_b32 exec_lo, exec_lo, s2
	s_mov_b32 s2, exec_lo
	s_barrier_signal -1
	s_barrier_wait -1
	ds_store_b128 v11, v[6:9]
	s_wait_dscnt 0x0
	s_barrier_signal -1
	s_barrier_wait -1
	v_cmpx_lt_u32_e32 1, v0
	s_cbranch_execz .LBB24_11
; %bb.8:
	v_add_nc_u32_e32 v12, -8, v1
	s_mov_b32 s3, exec_lo
	ds_load_b32 v12, v12
	s_wait_dscnt 0x0
	v_cmpx_eq_u32_e64 v10, v12
	s_cbranch_execz .LBB24_10
; %bb.9:
	v_subrev_nc_u32_e32 v12, 32, v11
	ds_load_b128 v[12:15], v12
	s_wait_dscnt 0x0
	v_add_f64_e32 v[6:7], v[6:7], v[12:13]
	v_add_f64_e32 v[8:9], v[8:9], v[14:15]
.LBB24_10:
	s_or_b32 exec_lo, exec_lo, s3
.LBB24_11:
	s_delay_alu instid0(SALU_CYCLE_1) | instskip(NEXT) | instid1(SALU_CYCLE_1)
	s_or_b32 exec_lo, exec_lo, s2
	s_mov_b32 s2, exec_lo
	s_barrier_signal -1
	s_barrier_wait -1
	ds_store_b128 v11, v[6:9]
	s_wait_dscnt 0x0
	s_barrier_signal -1
	s_barrier_wait -1
	v_cmpx_lt_u32_e32 3, v0
	s_cbranch_execz .LBB24_15
; %bb.12:
	v_add_nc_u32_e32 v12, -16, v1
	s_mov_b32 s3, exec_lo
	ds_load_b32 v12, v12
	s_wait_dscnt 0x0
	v_cmpx_eq_u32_e64 v10, v12
	s_cbranch_execz .LBB24_14
; %bb.13:
	v_subrev_nc_u32_e32 v12, 64, v11
	ds_load_b128 v[12:15], v12
	s_wait_dscnt 0x0
	v_add_f64_e32 v[6:7], v[6:7], v[12:13]
	v_add_f64_e32 v[8:9], v[8:9], v[14:15]
.LBB24_14:
	s_or_b32 exec_lo, exec_lo, s3
.LBB24_15:
	s_delay_alu instid0(SALU_CYCLE_1) | instskip(NEXT) | instid1(SALU_CYCLE_1)
	s_or_b32 exec_lo, exec_lo, s2
	s_mov_b32 s2, exec_lo
	s_barrier_signal -1
	s_barrier_wait -1
	ds_store_b128 v11, v[6:9]
	s_wait_dscnt 0x0
	s_barrier_signal -1
	s_barrier_wait -1
	v_cmpx_lt_u32_e32 7, v0
	s_cbranch_execz .LBB24_19
; %bb.16:
	v_subrev_nc_u32_e32 v12, 32, v1
	s_mov_b32 s3, exec_lo
	ds_load_b32 v12, v12
	s_wait_dscnt 0x0
	v_cmpx_eq_u32_e64 v10, v12
	s_cbranch_execz .LBB24_18
; %bb.17:
	v_add_nc_u32_e32 v12, 0xffffff80, v11
	ds_load_b128 v[12:15], v12
	s_wait_dscnt 0x0
	v_add_f64_e32 v[6:7], v[6:7], v[12:13]
	v_add_f64_e32 v[8:9], v[8:9], v[14:15]
.LBB24_18:
	s_or_b32 exec_lo, exec_lo, s3
.LBB24_19:
	s_delay_alu instid0(SALU_CYCLE_1) | instskip(NEXT) | instid1(SALU_CYCLE_1)
	s_or_b32 exec_lo, exec_lo, s2
	s_mov_b32 s2, exec_lo
	s_barrier_signal -1
	s_barrier_wait -1
	ds_store_b128 v11, v[6:9]
	s_wait_dscnt 0x0
	s_barrier_signal -1
	s_barrier_wait -1
	v_cmpx_lt_u32_e32 15, v0
	s_cbranch_execz .LBB24_23
; %bb.20:
	v_subrev_nc_u32_e32 v12, 64, v1
	s_mov_b32 s3, exec_lo
	ds_load_b32 v12, v12
	s_wait_dscnt 0x0
	v_cmpx_eq_u32_e64 v10, v12
	s_cbranch_execz .LBB24_22
; %bb.21:
	v_add_nc_u32_e32 v12, 0xffffff00, v11
	ds_load_b128 v[12:15], v12
	s_wait_dscnt 0x0
	v_add_f64_e32 v[6:7], v[6:7], v[12:13]
	v_add_f64_e32 v[8:9], v[8:9], v[14:15]
.LBB24_22:
	s_or_b32 exec_lo, exec_lo, s3
.LBB24_23:
	s_delay_alu instid0(SALU_CYCLE_1) | instskip(NEXT) | instid1(SALU_CYCLE_1)
	s_or_b32 exec_lo, exec_lo, s2
	s_mov_b32 s2, exec_lo
	s_barrier_signal -1
	s_barrier_wait -1
	ds_store_b128 v11, v[6:9]
	s_wait_dscnt 0x0
	s_barrier_signal -1
	s_barrier_wait -1
	v_cmpx_lt_u32_e32 31, v0
	s_cbranch_execz .LBB24_27
; %bb.24:
	v_add_nc_u32_e32 v12, 0xffffff80, v1
	s_mov_b32 s3, exec_lo
	ds_load_b32 v12, v12
	s_wait_dscnt 0x0
	v_cmpx_eq_u32_e64 v10, v12
	s_cbranch_execz .LBB24_26
; %bb.25:
	v_add_nc_u32_e32 v12, 0xfffffe00, v11
	ds_load_b128 v[12:15], v12
	s_wait_dscnt 0x0
	v_add_f64_e32 v[6:7], v[6:7], v[12:13]
	v_add_f64_e32 v[8:9], v[8:9], v[14:15]
.LBB24_26:
	s_or_b32 exec_lo, exec_lo, s3
.LBB24_27:
	s_delay_alu instid0(SALU_CYCLE_1) | instskip(NEXT) | instid1(SALU_CYCLE_1)
	s_or_b32 exec_lo, exec_lo, s2
	s_mov_b32 s2, exec_lo
	s_barrier_signal -1
	s_barrier_wait -1
	ds_store_b128 v11, v[6:9]
	s_wait_dscnt 0x0
	s_barrier_signal -1
	s_barrier_wait -1
	v_cmpx_lt_u32_e32 63, v0
	s_cbranch_execz .LBB24_31
; %bb.28:
	v_add_nc_u32_e32 v12, 0xffffff00, v1
	s_mov_b32 s3, exec_lo
	ds_load_b32 v12, v12
	s_wait_dscnt 0x0
	v_cmpx_eq_u32_e64 v10, v12
	s_cbranch_execz .LBB24_30
; %bb.29:
	v_add_nc_u32_e32 v12, 0xfffffc00, v11
	ds_load_b128 v[12:15], v12
	s_wait_dscnt 0x0
	v_add_f64_e32 v[6:7], v[6:7], v[12:13]
	v_add_f64_e32 v[8:9], v[8:9], v[14:15]
.LBB24_30:
	s_or_b32 exec_lo, exec_lo, s3
.LBB24_31:
	s_delay_alu instid0(SALU_CYCLE_1)
	s_or_b32 exec_lo, exec_lo, s2
	s_load_b64 s[2:3], s[0:1], 0x30
	s_wait_xcnt 0x0
	s_mov_b32 s0, exec_lo
	s_barrier_signal -1
	s_barrier_wait -1
	ds_store_b128 v11, v[6:9]
	s_wait_dscnt 0x0
	s_barrier_signal -1
	s_barrier_wait -1
	v_cmpx_lt_u32_e32 0x7f, v0
	s_cbranch_execz .LBB24_35
; %bb.32:
	v_add_nc_u32_e32 v12, 0xfffffe00, v1
	s_mov_b32 s1, exec_lo
	ds_load_b32 v12, v12
	s_wait_dscnt 0x0
	v_cmpx_eq_u32_e64 v10, v12
	s_cbranch_execz .LBB24_34
; %bb.33:
	v_add_nc_u32_e32 v12, 0xfffff800, v11
	ds_load_b128 v[12:15], v12
	s_wait_dscnt 0x0
	v_add_f64_e32 v[6:7], v[6:7], v[12:13]
	v_add_f64_e32 v[8:9], v[8:9], v[14:15]
.LBB24_34:
	s_or_b32 exec_lo, exec_lo, s1
.LBB24_35:
	s_delay_alu instid0(SALU_CYCLE_1) | instskip(NEXT) | instid1(SALU_CYCLE_1)
	s_or_b32 exec_lo, exec_lo, s0
	s_mov_b32 s1, exec_lo
	s_barrier_signal -1
	s_barrier_wait -1
	ds_store_b128 v11, v[6:9]
	s_wait_dscnt 0x0
	s_barrier_signal -1
	s_barrier_wait -1
	v_cmpx_gt_u32_e32 0xff, v0
	s_cbranch_execz .LBB24_38
; %bb.36:
	ds_load_b32 v1, v1 offset:4
	v_cmp_lt_i32_e64 s0, -1, v10
	s_wait_dscnt 0x0
	v_cmp_ne_u32_e32 vcc_lo, v10, v1
	s_and_b32 s0, s0, vcc_lo
	s_delay_alu instid0(SALU_CYCLE_1)
	s_and_b32 exec_lo, exec_lo, s0
	s_cbranch_execz .LBB24_38
; %bb.37:
	v_dual_mul_f64 v[12:13], v[8:9], -v[4:5] :: v_dual_mov_b32 v11, 0
	v_mul_f64_e32 v[14:15], v[2:3], v[8:9]
	s_wait_kmcnt 0x0
	s_delay_alu instid0(VALU_DEP_2) | instskip(NEXT) | instid1(VALU_DEP_3)
	v_lshl_add_u64 v[16:17], v[10:11], 4, s[2:3]
	v_fmac_f64_e32 v[12:13], v[2:3], v[6:7]
	s_delay_alu instid0(VALU_DEP_3)
	v_fmac_f64_e32 v[14:15], v[4:5], v[6:7]
	global_atomic_add_f64 v[16:17], v[12:13], off scope:SCOPE_DEV
	s_wait_xcnt 0x0
	global_atomic_add_f64 v[16:17], v[14:15], off offset:8 scope:SCOPE_DEV
.LBB24_38:
	s_wait_xcnt 0x0
	s_or_b32 exec_lo, exec_lo, s1
	v_cmp_eq_u32_e32 vcc_lo, 0xff, v0
	v_cmp_lt_i32_e64 s0, -1, v10
	s_and_b32 s0, vcc_lo, s0
	s_delay_alu instid0(SALU_CYCLE_1)
	s_and_b32 exec_lo, exec_lo, s0
	s_cbranch_execz .LBB24_40
; %bb.39:
	v_dual_mul_f64 v[0:1], v[8:9], -v[4:5] :: v_dual_mov_b32 v11, 0
	v_mul_f64_e32 v[8:9], v[2:3], v[8:9]
	s_delay_alu instid0(VALU_DEP_2) | instskip(SKIP_1) | instid1(VALU_DEP_3)
	v_fmac_f64_e32 v[0:1], v[2:3], v[6:7]
	s_wait_kmcnt 0x0
	v_lshl_add_u64 v[2:3], v[10:11], 4, s[2:3]
	s_delay_alu instid0(VALU_DEP_3)
	v_fmac_f64_e32 v[8:9], v[4:5], v[6:7]
	global_atomic_add_f64 v[2:3], v[0:1], off scope:SCOPE_DEV
	s_wait_xcnt 0x0
	global_atomic_add_f64 v[2:3], v[8:9], off offset:8 scope:SCOPE_DEV
.LBB24_40:
	s_endpgm
	.section	.rodata,"a",@progbits
	.p2align	6, 0x0
	.amdhsa_kernel _ZN9rocsparseL23coomvn_aos_atomic_loopsILj256ELj1Ei21rocsparse_complex_numIdES2_S2_S2_EEvlNS_24const_host_device_scalarIT5_EEPKT1_PKT2_PKT3_PT4_21rocsparse_index_base_b
		.amdhsa_group_segment_fixed_size 5120
		.amdhsa_private_segment_fixed_size 0
		.amdhsa_kernarg_size 64
		.amdhsa_user_sgpr_count 2
		.amdhsa_user_sgpr_dispatch_ptr 0
		.amdhsa_user_sgpr_queue_ptr 0
		.amdhsa_user_sgpr_kernarg_segment_ptr 1
		.amdhsa_user_sgpr_dispatch_id 0
		.amdhsa_user_sgpr_kernarg_preload_length 0
		.amdhsa_user_sgpr_kernarg_preload_offset 0
		.amdhsa_user_sgpr_private_segment_size 0
		.amdhsa_wavefront_size32 1
		.amdhsa_uses_dynamic_stack 0
		.amdhsa_enable_private_segment 0
		.amdhsa_system_sgpr_workgroup_id_x 1
		.amdhsa_system_sgpr_workgroup_id_y 0
		.amdhsa_system_sgpr_workgroup_id_z 0
		.amdhsa_system_sgpr_workgroup_info 0
		.amdhsa_system_vgpr_workitem_id 0
		.amdhsa_next_free_vgpr 20
		.amdhsa_next_free_sgpr 12
		.amdhsa_named_barrier_count 0
		.amdhsa_reserve_vcc 1
		.amdhsa_float_round_mode_32 0
		.amdhsa_float_round_mode_16_64 0
		.amdhsa_float_denorm_mode_32 3
		.amdhsa_float_denorm_mode_16_64 3
		.amdhsa_fp16_overflow 0
		.amdhsa_memory_ordered 1
		.amdhsa_forward_progress 1
		.amdhsa_inst_pref_size 12
		.amdhsa_round_robin_scheduling 0
		.amdhsa_exception_fp_ieee_invalid_op 0
		.amdhsa_exception_fp_denorm_src 0
		.amdhsa_exception_fp_ieee_div_zero 0
		.amdhsa_exception_fp_ieee_overflow 0
		.amdhsa_exception_fp_ieee_underflow 0
		.amdhsa_exception_fp_ieee_inexact 0
		.amdhsa_exception_int_div_zero 0
	.end_amdhsa_kernel
	.section	.text._ZN9rocsparseL23coomvn_aos_atomic_loopsILj256ELj1Ei21rocsparse_complex_numIdES2_S2_S2_EEvlNS_24const_host_device_scalarIT5_EEPKT1_PKT2_PKT3_PT4_21rocsparse_index_base_b,"axG",@progbits,_ZN9rocsparseL23coomvn_aos_atomic_loopsILj256ELj1Ei21rocsparse_complex_numIdES2_S2_S2_EEvlNS_24const_host_device_scalarIT5_EEPKT1_PKT2_PKT3_PT4_21rocsparse_index_base_b,comdat
.Lfunc_end24:
	.size	_ZN9rocsparseL23coomvn_aos_atomic_loopsILj256ELj1Ei21rocsparse_complex_numIdES2_S2_S2_EEvlNS_24const_host_device_scalarIT5_EEPKT1_PKT2_PKT3_PT4_21rocsparse_index_base_b, .Lfunc_end24-_ZN9rocsparseL23coomvn_aos_atomic_loopsILj256ELj1Ei21rocsparse_complex_numIdES2_S2_S2_EEvlNS_24const_host_device_scalarIT5_EEPKT1_PKT2_PKT3_PT4_21rocsparse_index_base_b
                                        ; -- End function
	.set _ZN9rocsparseL23coomvn_aos_atomic_loopsILj256ELj1Ei21rocsparse_complex_numIdES2_S2_S2_EEvlNS_24const_host_device_scalarIT5_EEPKT1_PKT2_PKT3_PT4_21rocsparse_index_base_b.num_vgpr, 20
	.set _ZN9rocsparseL23coomvn_aos_atomic_loopsILj256ELj1Ei21rocsparse_complex_numIdES2_S2_S2_EEvlNS_24const_host_device_scalarIT5_EEPKT1_PKT2_PKT3_PT4_21rocsparse_index_base_b.num_agpr, 0
	.set _ZN9rocsparseL23coomvn_aos_atomic_loopsILj256ELj1Ei21rocsparse_complex_numIdES2_S2_S2_EEvlNS_24const_host_device_scalarIT5_EEPKT1_PKT2_PKT3_PT4_21rocsparse_index_base_b.numbered_sgpr, 12
	.set _ZN9rocsparseL23coomvn_aos_atomic_loopsILj256ELj1Ei21rocsparse_complex_numIdES2_S2_S2_EEvlNS_24const_host_device_scalarIT5_EEPKT1_PKT2_PKT3_PT4_21rocsparse_index_base_b.num_named_barrier, 0
	.set _ZN9rocsparseL23coomvn_aos_atomic_loopsILj256ELj1Ei21rocsparse_complex_numIdES2_S2_S2_EEvlNS_24const_host_device_scalarIT5_EEPKT1_PKT2_PKT3_PT4_21rocsparse_index_base_b.private_seg_size, 0
	.set _ZN9rocsparseL23coomvn_aos_atomic_loopsILj256ELj1Ei21rocsparse_complex_numIdES2_S2_S2_EEvlNS_24const_host_device_scalarIT5_EEPKT1_PKT2_PKT3_PT4_21rocsparse_index_base_b.uses_vcc, 1
	.set _ZN9rocsparseL23coomvn_aos_atomic_loopsILj256ELj1Ei21rocsparse_complex_numIdES2_S2_S2_EEvlNS_24const_host_device_scalarIT5_EEPKT1_PKT2_PKT3_PT4_21rocsparse_index_base_b.uses_flat_scratch, 0
	.set _ZN9rocsparseL23coomvn_aos_atomic_loopsILj256ELj1Ei21rocsparse_complex_numIdES2_S2_S2_EEvlNS_24const_host_device_scalarIT5_EEPKT1_PKT2_PKT3_PT4_21rocsparse_index_base_b.has_dyn_sized_stack, 0
	.set _ZN9rocsparseL23coomvn_aos_atomic_loopsILj256ELj1Ei21rocsparse_complex_numIdES2_S2_S2_EEvlNS_24const_host_device_scalarIT5_EEPKT1_PKT2_PKT3_PT4_21rocsparse_index_base_b.has_recursion, 0
	.set _ZN9rocsparseL23coomvn_aos_atomic_loopsILj256ELj1Ei21rocsparse_complex_numIdES2_S2_S2_EEvlNS_24const_host_device_scalarIT5_EEPKT1_PKT2_PKT3_PT4_21rocsparse_index_base_b.has_indirect_call, 0
	.section	.AMDGPU.csdata,"",@progbits
; Kernel info:
; codeLenInByte = 1492
; TotalNumSgprs: 14
; NumVgprs: 20
; ScratchSize: 0
; MemoryBound: 0
; FloatMode: 240
; IeeeMode: 1
; LDSByteSize: 5120 bytes/workgroup (compile time only)
; SGPRBlocks: 0
; VGPRBlocks: 1
; NumSGPRsForWavesPerEU: 14
; NumVGPRsForWavesPerEU: 20
; NamedBarCnt: 0
; Occupancy: 16
; WaveLimiterHint : 1
; COMPUTE_PGM_RSRC2:SCRATCH_EN: 0
; COMPUTE_PGM_RSRC2:USER_SGPR: 2
; COMPUTE_PGM_RSRC2:TRAP_HANDLER: 0
; COMPUTE_PGM_RSRC2:TGID_X_EN: 1
; COMPUTE_PGM_RSRC2:TGID_Y_EN: 0
; COMPUTE_PGM_RSRC2:TGID_Z_EN: 0
; COMPUTE_PGM_RSRC2:TIDIG_COMP_CNT: 0
	.section	.text._ZN9rocsparseL17coomvt_aos_kernelILj1024Ei21rocsparse_complex_numIdES2_S2_S2_EEv20rocsparse_operation_lNS_24const_host_device_scalarIT4_EEPKT0_PKT1_PKT2_PT3_21rocsparse_index_base_b,"axG",@progbits,_ZN9rocsparseL17coomvt_aos_kernelILj1024Ei21rocsparse_complex_numIdES2_S2_S2_EEv20rocsparse_operation_lNS_24const_host_device_scalarIT4_EEPKT0_PKT1_PKT2_PT3_21rocsparse_index_base_b,comdat
	.globl	_ZN9rocsparseL17coomvt_aos_kernelILj1024Ei21rocsparse_complex_numIdES2_S2_S2_EEv20rocsparse_operation_lNS_24const_host_device_scalarIT4_EEPKT0_PKT1_PKT2_PT3_21rocsparse_index_base_b ; -- Begin function _ZN9rocsparseL17coomvt_aos_kernelILj1024Ei21rocsparse_complex_numIdES2_S2_S2_EEv20rocsparse_operation_lNS_24const_host_device_scalarIT4_EEPKT0_PKT1_PKT2_PT3_21rocsparse_index_base_b
	.p2align	8
	.type	_ZN9rocsparseL17coomvt_aos_kernelILj1024Ei21rocsparse_complex_numIdES2_S2_S2_EEv20rocsparse_operation_lNS_24const_host_device_scalarIT4_EEPKT0_PKT1_PKT2_PT3_21rocsparse_index_base_b,@function
_ZN9rocsparseL17coomvt_aos_kernelILj1024Ei21rocsparse_complex_numIdES2_S2_S2_EEv20rocsparse_operation_lNS_24const_host_device_scalarIT4_EEPKT0_PKT1_PKT2_PT3_21rocsparse_index_base_b: ; @_ZN9rocsparseL17coomvt_aos_kernelILj1024Ei21rocsparse_complex_numIdES2_S2_S2_EEv20rocsparse_operation_lNS_24const_host_device_scalarIT4_EEPKT0_PKT1_PKT2_PT3_21rocsparse_index_base_b
; %bb.0:
	s_clause 0x1
	s_load_b64 s[12:13], s[0:1], 0x40
	s_load_b128 s[4:7], s[0:1], 0x8
	v_mov_b32_e32 v1, 0
	s_add_nc_u64 s[2:3], s[0:1], 16
	s_wait_kmcnt 0x0
	s_bitcmp1_b32 s13, 0
	s_cselect_b32 s3, s3, s7
	s_cselect_b32 s2, s2, s6
	flat_load_b128 v[2:5], v1, s[2:3]
	s_wait_loadcnt_dscnt 0x0
	v_cmp_neq_f64_e32 vcc_lo, 0, v[2:3]
	v_cmp_neq_f64_e64 s2, 0, v[4:5]
	s_or_b32 s2, vcc_lo, s2
	s_delay_alu instid0(SALU_CYCLE_1)
	s_and_saveexec_b32 s3, s2
	s_cbranch_execz .LBB25_3
; %bb.1:
	s_load_b32 s2, s[0:1], 0x54
	s_bfe_u32 s3, ttmp6, 0x4000c
	s_and_b32 s6, ttmp6, 15
	s_add_co_i32 s3, s3, 1
	s_getreg_b32 s7, hwreg(HW_REG_IB_STS2, 6, 4)
	s_mul_i32 s3, ttmp9, s3
	s_delay_alu instid0(SALU_CYCLE_1) | instskip(SKIP_4) | instid1(SALU_CYCLE_1)
	s_add_co_i32 s6, s6, s3
	s_wait_kmcnt 0x0
	s_and_b32 s2, s2, 0xffff
	s_cmp_eq_u32 s7, 0
	s_cselect_b32 s3, ttmp9, s6
	v_mad_u32 v0, s3, s2, v0
	s_delay_alu instid0(VALU_DEP_1)
	v_cmp_gt_i64_e32 vcc_lo, s[4:5], v[0:1]
	s_and_b32 exec_lo, exec_lo, vcc_lo
	s_cbranch_execz .LBB25_3
; %bb.2:
	s_load_b256 s[4:11], s[0:1], 0x20
	s_wait_kmcnt 0x0
	v_lshl_add_u64 v[6:7], v[0:1], 3, s[4:5]
	v_lshl_add_u64 v[0:1], v[0:1], 4, s[6:7]
	s_load_b32 s0, s[0:1], 0x0
	global_load_b64 v[14:15], v[6:7], off
	global_load_b128 v[6:9], v[0:1], off
	s_wait_kmcnt 0x0
	s_cmp_eq_u32 s0, 0x71
	s_cselect_b32 vcc_lo, -1, 0
	s_wait_loadcnt 0x1
	s_wait_xcnt 0x0
	v_subrev_nc_u32_e32 v0, s12, v14
	global_load_b128 v[10:13], v0, s[8:9] scale_offset
	s_wait_loadcnt 0x1
	s_wait_xcnt 0x0
	v_xor_b32_e32 v0, 0x80000000, v9
	s_delay_alu instid0(VALU_DEP_1) | instskip(NEXT) | instid1(VALU_DEP_1)
	v_cndmask_b32_e32 v9, v9, v0, vcc_lo
	v_mul_f64_e32 v[0:1], v[2:3], v[8:9]
	v_mul_f64_e64 v[8:9], v[8:9], -v[4:5]
	s_delay_alu instid0(VALU_DEP_2) | instskip(NEXT) | instid1(VALU_DEP_2)
	v_fmac_f64_e32 v[0:1], v[4:5], v[6:7]
	v_fmac_f64_e32 v[8:9], v[2:3], v[6:7]
	s_wait_loadcnt 0x0
	s_delay_alu instid0(VALU_DEP_2) | instskip(NEXT) | instid1(VALU_DEP_2)
	v_mul_f64_e64 v[2:3], v[12:13], -v[0:1]
	v_mul_f64_e32 v[4:5], v[8:9], v[12:13]
	s_delay_alu instid0(VALU_DEP_2) | instskip(NEXT) | instid1(VALU_DEP_2)
	v_fmac_f64_e32 v[2:3], v[8:9], v[10:11]
	v_fmac_f64_e32 v[4:5], v[0:1], v[10:11]
	v_subrev_nc_u32_e32 v0, s12, v15
	s_delay_alu instid0(VALU_DEP_1) | instskip(NEXT) | instid1(VALU_DEP_1)
	v_ashrrev_i32_e32 v1, 31, v0
	v_lshl_add_u64 v[0:1], v[0:1], 4, s[10:11]
	global_atomic_add_f64 v[0:1], v[2:3], off scope:SCOPE_DEV
	s_wait_xcnt 0x0
	global_atomic_add_f64 v[0:1], v[4:5], off offset:8 scope:SCOPE_DEV
.LBB25_3:
	s_endpgm
	.section	.rodata,"a",@progbits
	.p2align	6, 0x0
	.amdhsa_kernel _ZN9rocsparseL17coomvt_aos_kernelILj1024Ei21rocsparse_complex_numIdES2_S2_S2_EEv20rocsparse_operation_lNS_24const_host_device_scalarIT4_EEPKT0_PKT1_PKT2_PT3_21rocsparse_index_base_b
		.amdhsa_group_segment_fixed_size 0
		.amdhsa_private_segment_fixed_size 0
		.amdhsa_kernarg_size 328
		.amdhsa_user_sgpr_count 2
		.amdhsa_user_sgpr_dispatch_ptr 0
		.amdhsa_user_sgpr_queue_ptr 0
		.amdhsa_user_sgpr_kernarg_segment_ptr 1
		.amdhsa_user_sgpr_dispatch_id 0
		.amdhsa_user_sgpr_kernarg_preload_length 0
		.amdhsa_user_sgpr_kernarg_preload_offset 0
		.amdhsa_user_sgpr_private_segment_size 0
		.amdhsa_wavefront_size32 1
		.amdhsa_uses_dynamic_stack 0
		.amdhsa_enable_private_segment 0
		.amdhsa_system_sgpr_workgroup_id_x 1
		.amdhsa_system_sgpr_workgroup_id_y 0
		.amdhsa_system_sgpr_workgroup_id_z 0
		.amdhsa_system_sgpr_workgroup_info 0
		.amdhsa_system_vgpr_workitem_id 0
		.amdhsa_next_free_vgpr 16
		.amdhsa_next_free_sgpr 14
		.amdhsa_named_barrier_count 0
		.amdhsa_reserve_vcc 1
		.amdhsa_float_round_mode_32 0
		.amdhsa_float_round_mode_16_64 0
		.amdhsa_float_denorm_mode_32 3
		.amdhsa_float_denorm_mode_16_64 3
		.amdhsa_fp16_overflow 0
		.amdhsa_memory_ordered 1
		.amdhsa_forward_progress 1
		.amdhsa_inst_pref_size 4
		.amdhsa_round_robin_scheduling 0
		.amdhsa_exception_fp_ieee_invalid_op 0
		.amdhsa_exception_fp_denorm_src 0
		.amdhsa_exception_fp_ieee_div_zero 0
		.amdhsa_exception_fp_ieee_overflow 0
		.amdhsa_exception_fp_ieee_underflow 0
		.amdhsa_exception_fp_ieee_inexact 0
		.amdhsa_exception_int_div_zero 0
	.end_amdhsa_kernel
	.section	.text._ZN9rocsparseL17coomvt_aos_kernelILj1024Ei21rocsparse_complex_numIdES2_S2_S2_EEv20rocsparse_operation_lNS_24const_host_device_scalarIT4_EEPKT0_PKT1_PKT2_PT3_21rocsparse_index_base_b,"axG",@progbits,_ZN9rocsparseL17coomvt_aos_kernelILj1024Ei21rocsparse_complex_numIdES2_S2_S2_EEv20rocsparse_operation_lNS_24const_host_device_scalarIT4_EEPKT0_PKT1_PKT2_PT3_21rocsparse_index_base_b,comdat
.Lfunc_end25:
	.size	_ZN9rocsparseL17coomvt_aos_kernelILj1024Ei21rocsparse_complex_numIdES2_S2_S2_EEv20rocsparse_operation_lNS_24const_host_device_scalarIT4_EEPKT0_PKT1_PKT2_PT3_21rocsparse_index_base_b, .Lfunc_end25-_ZN9rocsparseL17coomvt_aos_kernelILj1024Ei21rocsparse_complex_numIdES2_S2_S2_EEv20rocsparse_operation_lNS_24const_host_device_scalarIT4_EEPKT0_PKT1_PKT2_PT3_21rocsparse_index_base_b
                                        ; -- End function
	.set _ZN9rocsparseL17coomvt_aos_kernelILj1024Ei21rocsparse_complex_numIdES2_S2_S2_EEv20rocsparse_operation_lNS_24const_host_device_scalarIT4_EEPKT0_PKT1_PKT2_PT3_21rocsparse_index_base_b.num_vgpr, 16
	.set _ZN9rocsparseL17coomvt_aos_kernelILj1024Ei21rocsparse_complex_numIdES2_S2_S2_EEv20rocsparse_operation_lNS_24const_host_device_scalarIT4_EEPKT0_PKT1_PKT2_PT3_21rocsparse_index_base_b.num_agpr, 0
	.set _ZN9rocsparseL17coomvt_aos_kernelILj1024Ei21rocsparse_complex_numIdES2_S2_S2_EEv20rocsparse_operation_lNS_24const_host_device_scalarIT4_EEPKT0_PKT1_PKT2_PT3_21rocsparse_index_base_b.numbered_sgpr, 14
	.set _ZN9rocsparseL17coomvt_aos_kernelILj1024Ei21rocsparse_complex_numIdES2_S2_S2_EEv20rocsparse_operation_lNS_24const_host_device_scalarIT4_EEPKT0_PKT1_PKT2_PT3_21rocsparse_index_base_b.num_named_barrier, 0
	.set _ZN9rocsparseL17coomvt_aos_kernelILj1024Ei21rocsparse_complex_numIdES2_S2_S2_EEv20rocsparse_operation_lNS_24const_host_device_scalarIT4_EEPKT0_PKT1_PKT2_PT3_21rocsparse_index_base_b.private_seg_size, 0
	.set _ZN9rocsparseL17coomvt_aos_kernelILj1024Ei21rocsparse_complex_numIdES2_S2_S2_EEv20rocsparse_operation_lNS_24const_host_device_scalarIT4_EEPKT0_PKT1_PKT2_PT3_21rocsparse_index_base_b.uses_vcc, 1
	.set _ZN9rocsparseL17coomvt_aos_kernelILj1024Ei21rocsparse_complex_numIdES2_S2_S2_EEv20rocsparse_operation_lNS_24const_host_device_scalarIT4_EEPKT0_PKT1_PKT2_PT3_21rocsparse_index_base_b.uses_flat_scratch, 0
	.set _ZN9rocsparseL17coomvt_aos_kernelILj1024Ei21rocsparse_complex_numIdES2_S2_S2_EEv20rocsparse_operation_lNS_24const_host_device_scalarIT4_EEPKT0_PKT1_PKT2_PT3_21rocsparse_index_base_b.has_dyn_sized_stack, 0
	.set _ZN9rocsparseL17coomvt_aos_kernelILj1024Ei21rocsparse_complex_numIdES2_S2_S2_EEv20rocsparse_operation_lNS_24const_host_device_scalarIT4_EEPKT0_PKT1_PKT2_PT3_21rocsparse_index_base_b.has_recursion, 0
	.set _ZN9rocsparseL17coomvt_aos_kernelILj1024Ei21rocsparse_complex_numIdES2_S2_S2_EEv20rocsparse_operation_lNS_24const_host_device_scalarIT4_EEPKT0_PKT1_PKT2_PT3_21rocsparse_index_base_b.has_indirect_call, 0
	.section	.AMDGPU.csdata,"",@progbits
; Kernel info:
; codeLenInByte = 404
; TotalNumSgprs: 16
; NumVgprs: 16
; ScratchSize: 0
; MemoryBound: 0
; FloatMode: 240
; IeeeMode: 1
; LDSByteSize: 0 bytes/workgroup (compile time only)
; SGPRBlocks: 0
; VGPRBlocks: 0
; NumSGPRsForWavesPerEU: 16
; NumVGPRsForWavesPerEU: 16
; NamedBarCnt: 0
; Occupancy: 16
; WaveLimiterHint : 1
; COMPUTE_PGM_RSRC2:SCRATCH_EN: 0
; COMPUTE_PGM_RSRC2:USER_SGPR: 2
; COMPUTE_PGM_RSRC2:TRAP_HANDLER: 0
; COMPUTE_PGM_RSRC2:TGID_X_EN: 1
; COMPUTE_PGM_RSRC2:TGID_Y_EN: 0
; COMPUTE_PGM_RSRC2:TGID_Z_EN: 0
; COMPUTE_PGM_RSRC2:TIDIG_COMP_CNT: 0
	.section	.text._ZN9rocsparseL26coomvn_aos_segmented_loopsILj256Ei21rocsparse_complex_numIdES2_S2_S2_EEvlT0_NS_24const_host_device_scalarIT4_EEPKS3_PKT1_PKT2_PT3_PS3_PS5_21rocsparse_index_base_b,"axG",@progbits,_ZN9rocsparseL26coomvn_aos_segmented_loopsILj256Ei21rocsparse_complex_numIdES2_S2_S2_EEvlT0_NS_24const_host_device_scalarIT4_EEPKS3_PKT1_PKT2_PT3_PS3_PS5_21rocsparse_index_base_b,comdat
	.globl	_ZN9rocsparseL26coomvn_aos_segmented_loopsILj256Ei21rocsparse_complex_numIdES2_S2_S2_EEvlT0_NS_24const_host_device_scalarIT4_EEPKS3_PKT1_PKT2_PT3_PS3_PS5_21rocsparse_index_base_b ; -- Begin function _ZN9rocsparseL26coomvn_aos_segmented_loopsILj256Ei21rocsparse_complex_numIdES2_S2_S2_EEvlT0_NS_24const_host_device_scalarIT4_EEPKS3_PKT1_PKT2_PT3_PS3_PS5_21rocsparse_index_base_b
	.p2align	8
	.type	_ZN9rocsparseL26coomvn_aos_segmented_loopsILj256Ei21rocsparse_complex_numIdES2_S2_S2_EEvlT0_NS_24const_host_device_scalarIT4_EEPKS3_PKT1_PKT2_PT3_PS3_PS5_21rocsparse_index_base_b,@function
_ZN9rocsparseL26coomvn_aos_segmented_loopsILj256Ei21rocsparse_complex_numIdES2_S2_S2_EEvlT0_NS_24const_host_device_scalarIT4_EEPKS3_PKT1_PKT2_PT3_PS3_PS5_21rocsparse_index_base_b: ; @_ZN9rocsparseL26coomvn_aos_segmented_loopsILj256Ei21rocsparse_complex_numIdES2_S2_S2_EEvlT0_NS_24const_host_device_scalarIT4_EEPKS3_PKT1_PKT2_PT3_PS3_PS5_21rocsparse_index_base_b
; %bb.0:
	s_clause 0x1
	s_load_b64 s[20:21], s[0:1], 0x50
	s_load_b64 s[2:3], s[0:1], 0x10
	v_mov_b32_e32 v11, 0
	s_add_nc_u64 s[4:5], s[0:1], 16
	s_wait_kmcnt 0x0
	s_bitcmp1_b32 s21, 0
	s_cselect_b32 s3, s5, s3
	s_cselect_b32 s2, s4, s2
	flat_load_b128 v[2:5], v11, s[2:3]
	s_wait_loadcnt_dscnt 0x0
	v_cmp_neq_f64_e32 vcc_lo, 0, v[2:3]
	v_cmp_neq_f64_e64 s2, 0, v[4:5]
	s_or_b32 s2, vcc_lo, s2
	s_delay_alu instid0(SALU_CYCLE_1)
	s_and_saveexec_b32 s3, s2
	s_cbranch_execz .LBB26_87
; %bb.1:
	s_clause 0x1
	s_load_b96 s[16:18], s[0:1], 0x0
	s_load_b128 s[4:7], s[0:1], 0x20
	s_bfe_u32 s2, ttmp6, 0x4000c
	s_load_b64 s[24:25], s[0:1], 0x30
	s_add_co_i32 s2, s2, 1
	s_and_b32 s3, ttmp6, 15
	s_mul_i32 s2, ttmp9, s2
	s_getreg_b32 s8, hwreg(HW_REG_IB_STS2, 6, 4)
	s_add_co_i32 s3, s3, s2
	s_cmp_eq_u32 s8, 0
	v_mov_b64_e32 v[6:7], 0
	s_cselect_b32 s19, ttmp9, s3
	v_mov_b32_e32 v17, -1
	s_delay_alu instid0(VALU_DEP_2) | instskip(SKIP_2) | instid1(SALU_CYCLE_1)
	v_mov_b64_e32 v[8:9], v[6:7]
	s_wait_kmcnt 0x0
	s_mul_i32 s2, s19, s18
	v_lshl_or_b32 v10, s2, 8, v0
	s_mov_b32 s2, exec_lo
	s_delay_alu instid0(VALU_DEP_1)
	v_lshl_add_u64 v[14:15], v[10:11], 3, s[4:5]
	v_lshl_add_u64 v[12:13], v[10:11], 4, s[6:7]
	v_cmpx_gt_i64_e64 s[16:17], v[10:11]
	s_cbranch_execz .LBB26_3
; %bb.2:
	global_load_b64 v[24:25], v[14:15], off th:TH_LOAD_NT
	s_ashr_i32 s21, s20, 31
	s_delay_alu instid0(SALU_CYCLE_1) | instskip(SKIP_2) | instid1(VALU_DEP_1)
	s_lshl_b64 s[4:5], s[20:21], 4
	s_wait_loadcnt 0x0
	v_dual_mov_b32 v6, v25 :: v_dual_ashrrev_i32 v7, 31, v25
	v_lshl_add_u64 v[6:7], v[6:7], 4, s[24:25]
	s_delay_alu instid0(VALU_DEP_1)
	v_sub_nc_u64_e64 v[6:7], v[6:7], s[4:5]
	global_load_b128 v[16:19], v[12:13], off th:TH_LOAD_NT
	global_load_b128 v[20:23], v[6:7], off
	s_wait_loadcnt 0x0
	v_mul_f64_e64 v[6:7], v[22:23], -v[18:19]
	v_mul_f64_e32 v[8:9], v[16:17], v[22:23]
	s_delay_alu instid0(VALU_DEP_2) | instskip(NEXT) | instid1(VALU_DEP_2)
	v_fmac_f64_e32 v[6:7], v[16:17], v[20:21]
	v_fmac_f64_e32 v[8:9], v[18:19], v[20:21]
	v_subrev_nc_u32_e32 v17, s20, v24
.LBB26_3:
	s_or_b32 exec_lo, exec_lo, s2
	v_dual_lshlrev_b32 v18, 2, v0 :: v_dual_lshlrev_b32 v1, 4, v0
	v_cmp_eq_u32_e64 s2, 0, v0
	v_cmp_ne_u32_e64 s3, 0, v0
	ds_store_b32 v18, v17 offset:4096
	ds_store_b128 v1, v[6:9]
	v_or_b32_e32 v16, 0x1000, v18
	s_wait_dscnt 0x0
	s_barrier_signal -1
	s_barrier_wait -1
	s_delay_alu instid0(VALU_DEP_1)
	v_add_nc_u32_e32 v18, -4, v16
	s_and_saveexec_b32 s4, s3
	s_cbranch_execz .LBB26_7
; %bb.4:
	ds_load_b32 v19, v18
	s_mov_b32 s5, exec_lo
	s_wait_dscnt 0x0
	v_cmpx_eq_u32_e64 v17, v19
	s_cbranch_execz .LBB26_6
; %bb.5:
	v_add_nc_u32_e32 v19, -16, v1
	ds_load_b128 v[20:23], v19
	s_wait_dscnt 0x0
	v_add_f64_e32 v[6:7], v[6:7], v[20:21]
	v_add_f64_e32 v[8:9], v[8:9], v[22:23]
.LBB26_6:
	s_or_b32 exec_lo, exec_lo, s5
.LBB26_7:
	s_delay_alu instid0(SALU_CYCLE_1)
	s_or_b32 exec_lo, exec_lo, s4
	v_cmp_lt_u32_e64 s4, 1, v0
	v_add_nc_u32_e32 v19, -8, v16
	s_barrier_signal -1
	s_barrier_wait -1
	ds_store_b128 v1, v[6:9]
	s_wait_dscnt 0x0
	s_barrier_signal -1
	s_barrier_wait -1
	s_and_saveexec_b32 s5, s4
	s_cbranch_execz .LBB26_11
; %bb.8:
	ds_load_b32 v20, v19
	s_mov_b32 s6, exec_lo
	s_wait_dscnt 0x0
	v_cmpx_eq_u32_e64 v17, v20
	s_cbranch_execz .LBB26_10
; %bb.9:
	v_subrev_nc_u32_e32 v20, 32, v1
	ds_load_b128 v[20:23], v20
	s_wait_dscnt 0x0
	v_add_f64_e32 v[6:7], v[6:7], v[20:21]
	v_add_f64_e32 v[8:9], v[8:9], v[22:23]
.LBB26_10:
	s_or_b32 exec_lo, exec_lo, s6
.LBB26_11:
	s_delay_alu instid0(SALU_CYCLE_1)
	s_or_b32 exec_lo, exec_lo, s5
	v_cmp_lt_u32_e64 s5, 3, v0
	v_add_nc_u32_e32 v20, -16, v16
	s_barrier_signal -1
	s_barrier_wait -1
	ds_store_b128 v1, v[6:9]
	s_wait_dscnt 0x0
	s_barrier_signal -1
	s_barrier_wait -1
	s_and_saveexec_b32 s6, s5
	s_cbranch_execz .LBB26_15
; %bb.12:
	ds_load_b32 v21, v20
	s_mov_b32 s7, exec_lo
	s_wait_dscnt 0x0
	v_cmpx_eq_u32_e64 v17, v21
	s_cbranch_execz .LBB26_14
; %bb.13:
	v_subrev_nc_u32_e32 v21, 64, v1
	ds_load_b128 v[22:25], v21
	s_wait_dscnt 0x0
	v_add_f64_e32 v[6:7], v[6:7], v[22:23]
	v_add_f64_e32 v[8:9], v[8:9], v[24:25]
.LBB26_14:
	s_or_b32 exec_lo, exec_lo, s7
.LBB26_15:
	s_delay_alu instid0(SALU_CYCLE_1)
	s_or_b32 exec_lo, exec_lo, s6
	v_cmp_lt_u32_e64 s6, 7, v0
	v_subrev_nc_u32_e32 v21, 32, v16
	s_barrier_signal -1
	s_barrier_wait -1
	ds_store_b128 v1, v[6:9]
	s_wait_dscnt 0x0
	s_barrier_signal -1
	s_barrier_wait -1
	s_and_saveexec_b32 s7, s6
	s_cbranch_execz .LBB26_19
; %bb.16:
	ds_load_b32 v22, v21
	s_mov_b32 s8, exec_lo
	s_wait_dscnt 0x0
	v_cmpx_eq_u32_e64 v17, v22
	s_cbranch_execz .LBB26_18
; %bb.17:
	v_add_nc_u32_e32 v22, 0xffffff80, v1
	ds_load_b128 v[22:25], v22
	s_wait_dscnt 0x0
	v_add_f64_e32 v[6:7], v[6:7], v[22:23]
	v_add_f64_e32 v[8:9], v[8:9], v[24:25]
.LBB26_18:
	s_or_b32 exec_lo, exec_lo, s8
.LBB26_19:
	s_delay_alu instid0(SALU_CYCLE_1)
	s_or_b32 exec_lo, exec_lo, s7
	v_cmp_lt_u32_e64 s7, 15, v0
	v_subrev_nc_u32_e32 v22, 64, v16
	s_barrier_signal -1
	s_barrier_wait -1
	ds_store_b128 v1, v[6:9]
	s_wait_dscnt 0x0
	s_barrier_signal -1
	s_barrier_wait -1
	s_and_saveexec_b32 s8, s7
	s_cbranch_execz .LBB26_23
; %bb.20:
	ds_load_b32 v23, v22
	s_mov_b32 s9, exec_lo
	s_wait_dscnt 0x0
	v_cmpx_eq_u32_e64 v17, v23
	s_cbranch_execz .LBB26_22
; %bb.21:
	v_add_nc_u32_e32 v23, 0xffffff00, v1
	ds_load_b128 v[24:27], v23
	s_wait_dscnt 0x0
	v_add_f64_e32 v[6:7], v[6:7], v[24:25]
	v_add_f64_e32 v[8:9], v[8:9], v[26:27]
.LBB26_22:
	s_or_b32 exec_lo, exec_lo, s9
.LBB26_23:
	s_delay_alu instid0(SALU_CYCLE_1)
	s_or_b32 exec_lo, exec_lo, s8
	v_cmp_lt_u32_e64 s8, 31, v0
	v_add_nc_u32_e32 v23, 0xffffff80, v16
	s_barrier_signal -1
	s_barrier_wait -1
	ds_store_b128 v1, v[6:9]
	s_wait_dscnt 0x0
	s_barrier_signal -1
	s_barrier_wait -1
	s_and_saveexec_b32 s9, s8
	s_cbranch_execz .LBB26_27
; %bb.24:
	ds_load_b32 v24, v23
	s_mov_b32 s10, exec_lo
	s_wait_dscnt 0x0
	v_cmpx_eq_u32_e64 v17, v24
	s_cbranch_execz .LBB26_26
; %bb.25:
	v_add_nc_u32_e32 v24, 0xfffffe00, v1
	ds_load_b128 v[24:27], v24
	s_wait_dscnt 0x0
	v_add_f64_e32 v[6:7], v[6:7], v[24:25]
	v_add_f64_e32 v[8:9], v[8:9], v[26:27]
.LBB26_26:
	s_or_b32 exec_lo, exec_lo, s10
.LBB26_27:
	s_delay_alu instid0(SALU_CYCLE_1)
	s_or_b32 exec_lo, exec_lo, s9
	v_cmp_lt_u32_e64 s9, 63, v0
	v_add_nc_u32_e32 v24, 0xffffff00, v16
	s_barrier_signal -1
	s_barrier_wait -1
	ds_store_b128 v1, v[6:9]
	s_wait_dscnt 0x0
	s_barrier_signal -1
	s_barrier_wait -1
	s_and_saveexec_b32 s10, s9
	s_cbranch_execz .LBB26_31
; %bb.28:
	ds_load_b32 v25, v24
	s_mov_b32 s11, exec_lo
	s_wait_dscnt 0x0
	v_cmpx_eq_u32_e64 v17, v25
	s_cbranch_execz .LBB26_30
; %bb.29:
	v_add_nc_u32_e32 v25, 0xfffffc00, v1
	ds_load_b128 v[26:29], v25
	s_wait_dscnt 0x0
	v_add_f64_e32 v[6:7], v[6:7], v[26:27]
	v_add_f64_e32 v[8:9], v[8:9], v[28:29]
.LBB26_30:
	s_or_b32 exec_lo, exec_lo, s11
.LBB26_31:
	s_delay_alu instid0(SALU_CYCLE_1)
	s_or_b32 exec_lo, exec_lo, s10
	s_load_b64 s[22:23], s[0:1], 0x38
	v_cmp_lt_u32_e64 s10, 0x7f, v0
	v_add_nc_u32_e32 v25, 0xfffffe00, v16
	s_barrier_signal -1
	s_barrier_wait -1
	ds_store_b128 v1, v[6:9]
	s_wait_dscnt 0x0
	s_barrier_signal -1
	s_barrier_wait -1
	s_and_saveexec_b32 s11, s10
	s_cbranch_execz .LBB26_35
; %bb.32:
	ds_load_b32 v26, v25
	s_mov_b32 s12, exec_lo
	s_wait_dscnt 0x0
	v_cmpx_eq_u32_e64 v17, v26
	s_cbranch_execz .LBB26_34
; %bb.33:
	v_add_nc_u32_e32 v26, 0xfffff800, v1
	ds_load_b128 v[26:29], v26
	s_wait_dscnt 0x0
	v_add_f64_e32 v[6:7], v[6:7], v[26:27]
	v_add_f64_e32 v[8:9], v[8:9], v[28:29]
.LBB26_34:
	s_or_b32 exec_lo, exec_lo, s12
.LBB26_35:
	s_delay_alu instid0(SALU_CYCLE_1)
	s_or_b32 exec_lo, exec_lo, s11
	v_cmp_gt_u32_e64 s11, 0xff, v0
	s_barrier_signal -1
	s_barrier_wait -1
	ds_store_b128 v1, v[6:9]
	s_wait_dscnt 0x0
	s_barrier_signal -1
	s_barrier_wait -1
	s_and_saveexec_b32 s13, s11
	s_cbranch_execz .LBB26_38
; %bb.36:
	ds_load_b32 v26, v16 offset:4
	v_cmp_lt_i32_e64 s12, -1, v17
	s_wait_dscnt 0x0
	v_cmp_ne_u32_e32 vcc_lo, v17, v26
	s_and_b32 s12, s12, vcc_lo
	s_delay_alu instid0(SALU_CYCLE_1)
	s_and_b32 exec_lo, exec_lo, s12
	s_cbranch_execz .LBB26_38
; %bb.37:
	s_wait_kmcnt 0x0
	global_load_b128 v[26:29], v17, s[22:23] scale_offset
	s_wait_loadcnt 0x0
	v_fmac_f64_e32 v[26:27], v[2:3], v[6:7]
	v_fmac_f64_e32 v[28:29], v[4:5], v[6:7]
	s_delay_alu instid0(VALU_DEP_2) | instskip(NEXT) | instid1(VALU_DEP_2)
	v_fma_f64 v[26:27], -v[4:5], v[8:9], v[26:27]
	v_fmac_f64_e32 v[28:29], v[2:3], v[8:9]
	global_store_b128 v17, v[26:29], s[22:23] scale_offset
.LBB26_38:
	s_wait_xcnt 0x0
	s_or_b32 exec_lo, exec_lo, s13
	s_load_b128 s[12:15], s[0:1], 0x40
	s_cmp_lt_i32 s18, 2
	s_cbranch_scc1 .LBB26_85
; %bb.39:
	v_add_nc_u64_e32 v[12:13], 0x1000, v[12:13]
	v_add_nc_u64_e32 v[14:15], 0x800, v[14:15]
	;; [unrolled: 1-line block ×3, first 2 shown]
	s_ashr_i32 s21, s20, 31
	v_dual_add_nc_u32 v26, -16, v1 :: v_dual_mov_b32 v34, 0
	v_subrev_nc_u32_e32 v27, 32, v1
	v_subrev_nc_u32_e32 v28, 64, v1
	v_add_nc_u32_e32 v29, 0xffffff80, v1
	v_add_nc_u32_e32 v30, 0xffffff00, v1
	;; [unrolled: 1-line block ×5, first 2 shown]
	s_wait_xcnt 0x0
	s_lshl_b64 s[0:1], s[20:21], 4
	s_delay_alu instid0(SALU_CYCLE_1)
	s_sub_nc_u64 s[24:25], s[24:25], s[0:1]
	s_add_co_i32 s1, s18, -1
	s_branch .LBB26_41
.LBB26_40:                              ;   in Loop: Header=BB26_41 Depth=1
	s_wait_xcnt 0x0
	s_or_b32 exec_lo, exec_lo, s18
	v_add_nc_u64_e32 v[12:13], 0x1000, v[12:13]
	v_add_nc_u64_e32 v[14:15], 0x800, v[14:15]
	;; [unrolled: 1-line block ×3, first 2 shown]
	s_add_co_i32 s1, s1, -1
	s_delay_alu instid0(SALU_CYCLE_1)
	s_cmp_eq_u32 s1, 0
	s_cbranch_scc1 .LBB26_85
.LBB26_41:                              ; =>This Inner Loop Header: Depth=1
	v_mov_b64_e32 v[6:7], 0
	v_mov_b64_e32 v[8:9], 0
	v_mov_b32_e32 v17, -1
	s_mov_b32 s0, exec_lo
	v_cmpx_gt_i64_e64 s[16:17], v[10:11]
	s_cbranch_execz .LBB26_43
; %bb.42:                               ;   in Loop: Header=BB26_41 Depth=1
	global_load_b64 v[44:45], v[14:15], off th:TH_LOAD_NT
	global_load_b128 v[36:39], v[12:13], off th:TH_LOAD_NT
	s_wait_loadcnt 0x1
	global_load_b128 v[40:43], v45, s[24:25] scale_offset
	v_subrev_nc_u32_e32 v17, s20, v44
	s_wait_loadcnt 0x0
	v_mul_f64_e64 v[6:7], v[42:43], -v[38:39]
	v_mul_f64_e32 v[8:9], v[36:37], v[42:43]
	s_delay_alu instid0(VALU_DEP_2) | instskip(NEXT) | instid1(VALU_DEP_2)
	v_fmac_f64_e32 v[6:7], v[36:37], v[40:41]
	v_fmac_f64_e32 v[8:9], v[38:39], v[40:41]
.LBB26_43:                              ;   in Loop: Header=BB26_41 Depth=1
	s_wait_xcnt 0x0
	s_or_b32 exec_lo, exec_lo, s0
	s_and_saveexec_b32 s0, s2
	s_cbranch_execz .LBB26_50
; %bb.44:                               ;   in Loop: Header=BB26_41 Depth=1
	ds_load_b32 v35, v34 offset:5116
	s_mov_b32 s18, exec_lo
	s_wait_dscnt 0x0
	v_cmpx_ne_u32_e64 v17, v35
	s_xor_b32 s18, exec_lo, s18
	s_cbranch_execz .LBB26_47
; %bb.45:                               ;   in Loop: Header=BB26_41 Depth=1
	v_cmp_gt_i32_e32 vcc_lo, 0, v35
	s_cbranch_vccnz .LBB26_47
; %bb.46:                               ;   in Loop: Header=BB26_41 Depth=1
	s_wait_kmcnt 0x0
	global_load_b128 v[36:39], v35, s[22:23] scale_offset
	ds_load_b128 v[40:43], v34 offset:4080
	s_wait_loadcnt_dscnt 0x0
	v_fmac_f64_e32 v[36:37], v[2:3], v[40:41]
	v_fmac_f64_e32 v[38:39], v[4:5], v[40:41]
	s_delay_alu instid0(VALU_DEP_2) | instskip(NEXT) | instid1(VALU_DEP_2)
	v_fma_f64 v[36:37], -v[4:5], v[42:43], v[36:37]
	v_fmac_f64_e32 v[38:39], v[2:3], v[42:43]
	global_store_b128 v35, v[36:39], s[22:23] scale_offset
.LBB26_47:                              ;   in Loop: Header=BB26_41 Depth=1
	s_wait_xcnt 0x0
	s_and_not1_saveexec_b32 s18, s18
	s_cbranch_execz .LBB26_49
; %bb.48:                               ;   in Loop: Header=BB26_41 Depth=1
	ds_load_b128 v[36:39], v34 offset:4080
	s_wait_dscnt 0x0
	v_add_f64_e32 v[6:7], v[6:7], v[36:37]
	v_add_f64_e32 v[8:9], v[8:9], v[38:39]
.LBB26_49:                              ;   in Loop: Header=BB26_41 Depth=1
	s_or_b32 exec_lo, exec_lo, s18
.LBB26_50:                              ;   in Loop: Header=BB26_41 Depth=1
	s_delay_alu instid0(SALU_CYCLE_1)
	s_or_b32 exec_lo, exec_lo, s0
	s_wait_storecnt 0x0
	s_barrier_signal -1
	s_barrier_wait -1
	ds_store_b32 v16, v17
	ds_store_b128 v1, v[6:9]
	s_wait_dscnt 0x0
	s_barrier_signal -1
	s_barrier_wait -1
	s_and_saveexec_b32 s0, s3
	s_cbranch_execz .LBB26_54
; %bb.51:                               ;   in Loop: Header=BB26_41 Depth=1
	ds_load_b32 v35, v18
	s_mov_b32 s18, exec_lo
	s_wait_dscnt 0x0
	v_cmpx_eq_u32_e64 v17, v35
	s_cbranch_execz .LBB26_53
; %bb.52:                               ;   in Loop: Header=BB26_41 Depth=1
	ds_load_b128 v[36:39], v26
	s_wait_dscnt 0x0
	v_add_f64_e32 v[6:7], v[6:7], v[36:37]
	v_add_f64_e32 v[8:9], v[8:9], v[38:39]
.LBB26_53:                              ;   in Loop: Header=BB26_41 Depth=1
	s_or_b32 exec_lo, exec_lo, s18
.LBB26_54:                              ;   in Loop: Header=BB26_41 Depth=1
	s_delay_alu instid0(SALU_CYCLE_1)
	s_or_b32 exec_lo, exec_lo, s0
	s_barrier_signal -1
	s_barrier_wait -1
	ds_store_b128 v1, v[6:9]
	s_wait_dscnt 0x0
	s_barrier_signal -1
	s_barrier_wait -1
	s_and_saveexec_b32 s0, s4
	s_cbranch_execz .LBB26_58
; %bb.55:                               ;   in Loop: Header=BB26_41 Depth=1
	ds_load_b32 v35, v19
	s_mov_b32 s18, exec_lo
	s_wait_dscnt 0x0
	v_cmpx_eq_u32_e64 v17, v35
	s_cbranch_execz .LBB26_57
; %bb.56:                               ;   in Loop: Header=BB26_41 Depth=1
	ds_load_b128 v[36:39], v27
	s_wait_dscnt 0x0
	v_add_f64_e32 v[6:7], v[6:7], v[36:37]
	v_add_f64_e32 v[8:9], v[8:9], v[38:39]
.LBB26_57:                              ;   in Loop: Header=BB26_41 Depth=1
	s_or_b32 exec_lo, exec_lo, s18
.LBB26_58:                              ;   in Loop: Header=BB26_41 Depth=1
	s_delay_alu instid0(SALU_CYCLE_1)
	s_or_b32 exec_lo, exec_lo, s0
	s_barrier_signal -1
	s_barrier_wait -1
	;; [unrolled: 24-line block ×8, first 2 shown]
	ds_store_b128 v1, v[6:9]
	s_wait_dscnt 0x0
	s_barrier_signal -1
	s_barrier_wait -1
	s_and_saveexec_b32 s18, s11
	s_cbranch_execz .LBB26_40
; %bb.83:                               ;   in Loop: Header=BB26_41 Depth=1
	ds_load_b32 v35, v16 offset:4
	v_cmp_lt_i32_e64 s0, -1, v17
	s_wait_dscnt 0x0
	v_cmp_ne_u32_e32 vcc_lo, v17, v35
	s_and_b32 s0, s0, vcc_lo
	s_delay_alu instid0(SALU_CYCLE_1)
	s_and_b32 exec_lo, exec_lo, s0
	s_cbranch_execz .LBB26_40
; %bb.84:                               ;   in Loop: Header=BB26_41 Depth=1
	s_wait_kmcnt 0x0
	global_load_b128 v[36:39], v17, s[22:23] scale_offset
	s_wait_loadcnt 0x0
	v_fmac_f64_e32 v[36:37], v[2:3], v[6:7]
	v_fmac_f64_e32 v[38:39], v[4:5], v[6:7]
	s_delay_alu instid0(VALU_DEP_2) | instskip(NEXT) | instid1(VALU_DEP_2)
	v_fma_f64 v[36:37], -v[4:5], v[8:9], v[36:37]
	v_fmac_f64_e32 v[38:39], v[2:3], v[8:9]
	global_store_b128 v17, v[36:39], s[22:23] scale_offset
	s_branch .LBB26_40
.LBB26_85:
	v_cmp_eq_u32_e32 vcc_lo, 0xff, v0
	s_and_b32 exec_lo, exec_lo, vcc_lo
	s_cbranch_execz .LBB26_87
; %bb.86:
	v_dual_mul_f64 v[10:11], v[8:9], -v[4:5] :: v_dual_mov_b32 v0, s19
	v_mul_f64_e32 v[12:13], v[2:3], v[8:9]
	s_delay_alu instid0(VALU_DEP_2) | instskip(NEXT) | instid1(VALU_DEP_2)
	v_fmac_f64_e32 v[10:11], v[2:3], v[6:7]
	v_fmac_f64_e32 v[12:13], v[4:5], v[6:7]
	s_wait_kmcnt 0x0
	s_clause 0x1
	global_store_b32 v0, v17, s[12:13] scale_offset th:TH_STORE_NT
	global_store_b128 v0, v[10:13], s[14:15] scale_offset th:TH_STORE_NT
.LBB26_87:
	s_endpgm
	.section	.rodata,"a",@progbits
	.p2align	6, 0x0
	.amdhsa_kernel _ZN9rocsparseL26coomvn_aos_segmented_loopsILj256Ei21rocsparse_complex_numIdES2_S2_S2_EEvlT0_NS_24const_host_device_scalarIT4_EEPKS3_PKT1_PKT2_PT3_PS3_PS5_21rocsparse_index_base_b
		.amdhsa_group_segment_fixed_size 5120
		.amdhsa_private_segment_fixed_size 0
		.amdhsa_kernarg_size 88
		.amdhsa_user_sgpr_count 2
		.amdhsa_user_sgpr_dispatch_ptr 0
		.amdhsa_user_sgpr_queue_ptr 0
		.amdhsa_user_sgpr_kernarg_segment_ptr 1
		.amdhsa_user_sgpr_dispatch_id 0
		.amdhsa_user_sgpr_kernarg_preload_length 0
		.amdhsa_user_sgpr_kernarg_preload_offset 0
		.amdhsa_user_sgpr_private_segment_size 0
		.amdhsa_wavefront_size32 1
		.amdhsa_uses_dynamic_stack 0
		.amdhsa_enable_private_segment 0
		.amdhsa_system_sgpr_workgroup_id_x 1
		.amdhsa_system_sgpr_workgroup_id_y 0
		.amdhsa_system_sgpr_workgroup_id_z 0
		.amdhsa_system_sgpr_workgroup_info 0
		.amdhsa_system_vgpr_workitem_id 0
		.amdhsa_next_free_vgpr 46
		.amdhsa_next_free_sgpr 26
		.amdhsa_named_barrier_count 0
		.amdhsa_reserve_vcc 1
		.amdhsa_float_round_mode_32 0
		.amdhsa_float_round_mode_16_64 0
		.amdhsa_float_denorm_mode_32 3
		.amdhsa_float_denorm_mode_16_64 3
		.amdhsa_fp16_overflow 0
		.amdhsa_memory_ordered 1
		.amdhsa_forward_progress 1
		.amdhsa_inst_pref_size 23
		.amdhsa_round_robin_scheduling 0
		.amdhsa_exception_fp_ieee_invalid_op 0
		.amdhsa_exception_fp_denorm_src 0
		.amdhsa_exception_fp_ieee_div_zero 0
		.amdhsa_exception_fp_ieee_overflow 0
		.amdhsa_exception_fp_ieee_underflow 0
		.amdhsa_exception_fp_ieee_inexact 0
		.amdhsa_exception_int_div_zero 0
	.end_amdhsa_kernel
	.section	.text._ZN9rocsparseL26coomvn_aos_segmented_loopsILj256Ei21rocsparse_complex_numIdES2_S2_S2_EEvlT0_NS_24const_host_device_scalarIT4_EEPKS3_PKT1_PKT2_PT3_PS3_PS5_21rocsparse_index_base_b,"axG",@progbits,_ZN9rocsparseL26coomvn_aos_segmented_loopsILj256Ei21rocsparse_complex_numIdES2_S2_S2_EEvlT0_NS_24const_host_device_scalarIT4_EEPKS3_PKT1_PKT2_PT3_PS3_PS5_21rocsparse_index_base_b,comdat
.Lfunc_end26:
	.size	_ZN9rocsparseL26coomvn_aos_segmented_loopsILj256Ei21rocsparse_complex_numIdES2_S2_S2_EEvlT0_NS_24const_host_device_scalarIT4_EEPKS3_PKT1_PKT2_PT3_PS3_PS5_21rocsparse_index_base_b, .Lfunc_end26-_ZN9rocsparseL26coomvn_aos_segmented_loopsILj256Ei21rocsparse_complex_numIdES2_S2_S2_EEvlT0_NS_24const_host_device_scalarIT4_EEPKS3_PKT1_PKT2_PT3_PS3_PS5_21rocsparse_index_base_b
                                        ; -- End function
	.set _ZN9rocsparseL26coomvn_aos_segmented_loopsILj256Ei21rocsparse_complex_numIdES2_S2_S2_EEvlT0_NS_24const_host_device_scalarIT4_EEPKS3_PKT1_PKT2_PT3_PS3_PS5_21rocsparse_index_base_b.num_vgpr, 46
	.set _ZN9rocsparseL26coomvn_aos_segmented_loopsILj256Ei21rocsparse_complex_numIdES2_S2_S2_EEvlT0_NS_24const_host_device_scalarIT4_EEPKS3_PKT1_PKT2_PT3_PS3_PS5_21rocsparse_index_base_b.num_agpr, 0
	.set _ZN9rocsparseL26coomvn_aos_segmented_loopsILj256Ei21rocsparse_complex_numIdES2_S2_S2_EEvlT0_NS_24const_host_device_scalarIT4_EEPKS3_PKT1_PKT2_PT3_PS3_PS5_21rocsparse_index_base_b.numbered_sgpr, 26
	.set _ZN9rocsparseL26coomvn_aos_segmented_loopsILj256Ei21rocsparse_complex_numIdES2_S2_S2_EEvlT0_NS_24const_host_device_scalarIT4_EEPKS3_PKT1_PKT2_PT3_PS3_PS5_21rocsparse_index_base_b.num_named_barrier, 0
	.set _ZN9rocsparseL26coomvn_aos_segmented_loopsILj256Ei21rocsparse_complex_numIdES2_S2_S2_EEvlT0_NS_24const_host_device_scalarIT4_EEPKS3_PKT1_PKT2_PT3_PS3_PS5_21rocsparse_index_base_b.private_seg_size, 0
	.set _ZN9rocsparseL26coomvn_aos_segmented_loopsILj256Ei21rocsparse_complex_numIdES2_S2_S2_EEvlT0_NS_24const_host_device_scalarIT4_EEPKS3_PKT1_PKT2_PT3_PS3_PS5_21rocsparse_index_base_b.uses_vcc, 1
	.set _ZN9rocsparseL26coomvn_aos_segmented_loopsILj256Ei21rocsparse_complex_numIdES2_S2_S2_EEvlT0_NS_24const_host_device_scalarIT4_EEPKS3_PKT1_PKT2_PT3_PS3_PS5_21rocsparse_index_base_b.uses_flat_scratch, 0
	.set _ZN9rocsparseL26coomvn_aos_segmented_loopsILj256Ei21rocsparse_complex_numIdES2_S2_S2_EEvlT0_NS_24const_host_device_scalarIT4_EEPKS3_PKT1_PKT2_PT3_PS3_PS5_21rocsparse_index_base_b.has_dyn_sized_stack, 0
	.set _ZN9rocsparseL26coomvn_aos_segmented_loopsILj256Ei21rocsparse_complex_numIdES2_S2_S2_EEvlT0_NS_24const_host_device_scalarIT4_EEPKS3_PKT1_PKT2_PT3_PS3_PS5_21rocsparse_index_base_b.has_recursion, 0
	.set _ZN9rocsparseL26coomvn_aos_segmented_loopsILj256Ei21rocsparse_complex_numIdES2_S2_S2_EEvlT0_NS_24const_host_device_scalarIT4_EEPKS3_PKT1_PKT2_PT3_PS3_PS5_21rocsparse_index_base_b.has_indirect_call, 0
	.section	.AMDGPU.csdata,"",@progbits
; Kernel info:
; codeLenInByte = 2896
; TotalNumSgprs: 28
; NumVgprs: 46
; ScratchSize: 0
; MemoryBound: 1
; FloatMode: 240
; IeeeMode: 1
; LDSByteSize: 5120 bytes/workgroup (compile time only)
; SGPRBlocks: 0
; VGPRBlocks: 2
; NumSGPRsForWavesPerEU: 28
; NumVGPRsForWavesPerEU: 46
; NamedBarCnt: 0
; Occupancy: 16
; WaveLimiterHint : 1
; COMPUTE_PGM_RSRC2:SCRATCH_EN: 0
; COMPUTE_PGM_RSRC2:USER_SGPR: 2
; COMPUTE_PGM_RSRC2:TRAP_HANDLER: 0
; COMPUTE_PGM_RSRC2:TGID_X_EN: 1
; COMPUTE_PGM_RSRC2:TGID_Y_EN: 0
; COMPUTE_PGM_RSRC2:TGID_Z_EN: 0
; COMPUTE_PGM_RSRC2:TIDIG_COMP_CNT: 0
	.section	.text._ZN9rocsparseL29coomvn_segmented_loops_reduceILj256Ei21rocsparse_complex_numIdES2_EEvT0_NS_24const_host_device_scalarIT2_EEPKS3_PKS5_PT1_b,"axG",@progbits,_ZN9rocsparseL29coomvn_segmented_loops_reduceILj256Ei21rocsparse_complex_numIdES2_EEvT0_NS_24const_host_device_scalarIT2_EEPKS3_PKS5_PT1_b,comdat
	.globl	_ZN9rocsparseL29coomvn_segmented_loops_reduceILj256Ei21rocsparse_complex_numIdES2_EEvT0_NS_24const_host_device_scalarIT2_EEPKS3_PKS5_PT1_b ; -- Begin function _ZN9rocsparseL29coomvn_segmented_loops_reduceILj256Ei21rocsparse_complex_numIdES2_EEvT0_NS_24const_host_device_scalarIT2_EEPKS3_PKS5_PT1_b
	.p2align	8
	.type	_ZN9rocsparseL29coomvn_segmented_loops_reduceILj256Ei21rocsparse_complex_numIdES2_EEvT0_NS_24const_host_device_scalarIT2_EEPKS3_PKS5_PT1_b,@function
_ZN9rocsparseL29coomvn_segmented_loops_reduceILj256Ei21rocsparse_complex_numIdES2_EEvT0_NS_24const_host_device_scalarIT2_EEPKS3_PKS5_PT1_b: ; @_ZN9rocsparseL29coomvn_segmented_loops_reduceILj256Ei21rocsparse_complex_numIdES2_EEvT0_NS_24const_host_device_scalarIT2_EEPKS3_PKS5_PT1_b
; %bb.0:
	s_clause 0x1
	s_load_b32 s6, s[0:1], 0x30
	s_load_b64 s[2:3], s[0:1], 0x8
	v_mov_b32_e32 v1, 0
	s_add_nc_u64 s[4:5], s[0:1], 8
	s_wait_kmcnt 0x0
	s_bitcmp1_b32 s6, 0
	s_cselect_b32 s3, s5, s3
	s_cselect_b32 s2, s4, s2
	flat_load_b128 v[2:5], v1, s[2:3]
	s_wait_loadcnt_dscnt 0x0
	v_cmp_neq_f64_e32 vcc_lo, 0, v[2:3]
	v_cmp_neq_f64_e64 s2, 0, v[4:5]
	s_or_b32 s2, vcc_lo, s2
	s_delay_alu instid0(SALU_CYCLE_1)
	s_and_saveexec_b32 s3, s2
	s_cbranch_execz .LBB27_42
; %bb.1:
	s_load_b32 s8, s[0:1], 0x0
	s_wait_kmcnt 0x0
	s_cmp_lt_i32 s8, 1
	s_cbranch_scc1 .LBB27_42
; %bb.2:
	v_sub_co_u32 v2, s9, v0, 1
	s_clause 0x1
	s_load_b128 s[4:7], s[0:1], 0x18
	s_load_b64 s[2:3], s[0:1], 0x28
	s_wait_xcnt 0x0
	v_sub_co_u32 v3, s1, v0, 4
	v_lshl_add_u32 v11, v2, 2, 0x1000
	v_sub_co_u32 v2, s0, v0, 2
	s_xor_b32 s10, s0, -1
	s_xor_b32 s11, s1, -1
	v_lshl_add_u32 v15, v3, 2, 0x1000
	v_lshl_add_u32 v13, v2, 2, 0x1000
	v_sub_co_u32 v2, s0, v0, 8
	v_sub_co_u32 v3, s1, v0, 16
	s_xor_b32 s12, s0, -1
	v_lshl_add_u32 v17, v2, 2, 0x1000
	v_sub_co_u32 v2, s0, v0, 32
	v_lshlrev_b32_e32 v10, 4, v0
	s_xor_b32 s13, s1, -1
	v_lshl_add_u32 v19, v3, 2, 0x1000
	s_xor_b32 s14, s0, -1
	v_sub_co_u32 v3, s0, v0, 64
	v_subrev_co_u32 v4, s1, 0x80, v0
	v_lshl_or_b32 v1, v0, 2, 0x1000
	v_add_nc_u32_e32 v12, -16, v10
	v_subrev_nc_u32_e32 v14, 32, v10
	v_subrev_nc_u32_e32 v16, 64, v10
	v_add_nc_u32_e32 v18, 0xffffff80, v10
	v_add_nc_u32_e32 v20, 0xffffff00, v10
	v_lshl_add_u32 v21, v2, 2, 0x1000
	v_add_nc_u32_e32 v22, 0xfffffe00, v10
	v_lshl_add_u32 v23, v3, 2, 0x1000
	;; [unrolled: 2-line block ×3, first 2 shown]
	v_add_nc_u32_e32 v26, 0xfffff800, v10
	s_xor_b32 s9, s9, -1
	s_xor_b32 s15, s0, -1
	;; [unrolled: 1-line block ×3, first 2 shown]
	s_mov_b32 s17, 0
	v_cmp_gt_u32_e32 vcc_lo, 0xff, v0
	s_branch .LBB27_4
.LBB27_3:                               ;   in Loop: Header=BB27_4 Depth=1
	s_wait_xcnt 0x0
	s_or_b32 exec_lo, exec_lo, s0
	s_addk_co_i32 s17, 0x100
	s_wait_storecnt 0x0
	s_cmp_lt_i32 s17, s8
	s_barrier_signal -1
	s_barrier_wait -1
	s_cbranch_scc0 .LBB27_42
.LBB27_4:                               ; =>This Inner Loop Header: Depth=1
	v_mov_b64_e32 v[4:5], 0
	v_mov_b64_e32 v[8:9], 0
	;; [unrolled: 1-line block ×3, first 2 shown]
	v_dual_mov_b32 v27, -1 :: v_dual_add_nc_u32 v2, s17, v0
	s_mov_b32 s1, exec_lo
	s_delay_alu instid0(VALU_DEP_1)
	v_cmpx_gt_i32_e64 s8, v2
	s_cbranch_execz .LBB27_6
; %bb.5:                                ;   in Loop: Header=BB27_4 Depth=1
	s_wait_kmcnt 0x0
	s_clause 0x1
	global_load_b32 v27, v2, s[4:5] scale_offset
	global_load_b128 v[6:9], v2, s[6:7] scale_offset
.LBB27_6:                               ;   in Loop: Header=BB27_4 Depth=1
	s_wait_xcnt 0x0
	s_or_b32 exec_lo, exec_lo, s1
	v_mov_b64_e32 v[2:3], 0
	s_wait_loadcnt 0x1
	ds_store_b32 v1, v27
	s_wait_loadcnt 0x0
	ds_store_b128 v10, v[6:9]
	s_wait_dscnt 0x0
	s_barrier_signal -1
	s_barrier_wait -1
	s_and_saveexec_b32 s1, s9
	s_cbranch_execz .LBB27_10
; %bb.7:                                ;   in Loop: Header=BB27_4 Depth=1
	ds_load_2addr_b32 v[6:7], v11 offset1:1
	v_mov_b64_e32 v[2:3], 0
	v_mov_b64_e32 v[4:5], 0
	s_mov_b32 s18, exec_lo
	s_wait_dscnt 0x0
	v_cmpx_eq_u32_e64 v7, v6
; %bb.8:                                ;   in Loop: Header=BB27_4 Depth=1
	ds_load_b128 v[2:5], v12
; %bb.9:                                ;   in Loop: Header=BB27_4 Depth=1
	s_or_b32 exec_lo, exec_lo, s18
.LBB27_10:                              ;   in Loop: Header=BB27_4 Depth=1
	s_delay_alu instid0(SALU_CYCLE_1)
	s_or_b32 exec_lo, exec_lo, s1
	s_wait_dscnt 0x0
	s_barrier_signal -1
	s_barrier_wait -1
	ds_load_b128 v[6:9], v10
	s_wait_dscnt 0x0
	v_add_f64_e32 v[28:29], v[2:3], v[6:7]
	v_add_f64_e32 v[30:31], v[4:5], v[8:9]
	v_mov_b64_e32 v[4:5], 0
	v_mov_b64_e32 v[8:9], 0
	v_mov_b64_e32 v[6:7], 0
	ds_store_b128 v10, v[28:31]
	s_wait_dscnt 0x0
	s_barrier_signal -1
	s_barrier_wait -1
	s_and_saveexec_b32 s1, s10
	s_cbranch_execz .LBB27_14
; %bb.11:                               ;   in Loop: Header=BB27_4 Depth=1
	ds_load_b32 v2, v1
	ds_load_b32 v3, v13
	v_mov_b64_e32 v[6:7], 0
	v_mov_b64_e32 v[8:9], 0
	s_mov_b32 s18, exec_lo
	s_wait_dscnt 0x0
	v_cmpx_eq_u32_e64 v2, v3
; %bb.12:                               ;   in Loop: Header=BB27_4 Depth=1
	ds_load_b128 v[6:9], v14
; %bb.13:                               ;   in Loop: Header=BB27_4 Depth=1
	s_or_b32 exec_lo, exec_lo, s18
.LBB27_14:                              ;   in Loop: Header=BB27_4 Depth=1
	s_delay_alu instid0(SALU_CYCLE_1)
	s_or_b32 exec_lo, exec_lo, s1
	s_wait_dscnt 0x0
	s_barrier_signal -1
	s_barrier_wait -1
	ds_load_b128 v[28:31], v10
	v_mov_b64_e32 v[2:3], 0
	s_wait_dscnt 0x0
	v_add_f64_e32 v[6:7], v[6:7], v[28:29]
	v_add_f64_e32 v[8:9], v[8:9], v[30:31]
	ds_store_b128 v10, v[6:9]
	s_wait_dscnt 0x0
	s_barrier_signal -1
	s_barrier_wait -1
	s_and_saveexec_b32 s1, s11
	s_cbranch_execz .LBB27_18
; %bb.15:                               ;   in Loop: Header=BB27_4 Depth=1
	ds_load_b32 v6, v1
	ds_load_b32 v7, v15
	v_mov_b64_e32 v[2:3], 0
	v_mov_b64_e32 v[4:5], 0
	s_mov_b32 s18, exec_lo
	s_wait_dscnt 0x0
	v_cmpx_eq_u32_e64 v6, v7
; %bb.16:                               ;   in Loop: Header=BB27_4 Depth=1
	ds_load_b128 v[2:5], v16
; %bb.17:                               ;   in Loop: Header=BB27_4 Depth=1
	s_or_b32 exec_lo, exec_lo, s18
.LBB27_18:                              ;   in Loop: Header=BB27_4 Depth=1
	s_delay_alu instid0(SALU_CYCLE_1)
	s_or_b32 exec_lo, exec_lo, s1
	s_wait_dscnt 0x0
	s_barrier_signal -1
	s_barrier_wait -1
	ds_load_b128 v[6:9], v10
	s_wait_dscnt 0x0
	v_add_f64_e32 v[28:29], v[2:3], v[6:7]
	v_add_f64_e32 v[30:31], v[4:5], v[8:9]
	v_mov_b64_e32 v[4:5], 0
	v_mov_b64_e32 v[8:9], 0
	v_mov_b64_e32 v[6:7], 0
	ds_store_b128 v10, v[28:31]
	s_wait_dscnt 0x0
	s_barrier_signal -1
	s_barrier_wait -1
	s_and_saveexec_b32 s1, s12
	s_cbranch_execz .LBB27_22
; %bb.19:                               ;   in Loop: Header=BB27_4 Depth=1
	ds_load_b32 v2, v1
	ds_load_b32 v3, v17
	v_mov_b64_e32 v[6:7], 0
	v_mov_b64_e32 v[8:9], 0
	s_mov_b32 s18, exec_lo
	s_wait_dscnt 0x0
	v_cmpx_eq_u32_e64 v2, v3
; %bb.20:                               ;   in Loop: Header=BB27_4 Depth=1
	ds_load_b128 v[6:9], v18
; %bb.21:                               ;   in Loop: Header=BB27_4 Depth=1
	s_or_b32 exec_lo, exec_lo, s18
.LBB27_22:                              ;   in Loop: Header=BB27_4 Depth=1
	s_delay_alu instid0(SALU_CYCLE_1)
	s_or_b32 exec_lo, exec_lo, s1
	s_wait_dscnt 0x0
	s_barrier_signal -1
	s_barrier_wait -1
	ds_load_b128 v[28:31], v10
	v_mov_b64_e32 v[2:3], 0
	s_wait_dscnt 0x0
	v_add_f64_e32 v[6:7], v[6:7], v[28:29]
	v_add_f64_e32 v[8:9], v[8:9], v[30:31]
	ds_store_b128 v10, v[6:9]
	s_wait_dscnt 0x0
	s_barrier_signal -1
	s_barrier_wait -1
	s_and_saveexec_b32 s1, s13
	s_cbranch_execz .LBB27_26
; %bb.23:                               ;   in Loop: Header=BB27_4 Depth=1
	ds_load_b32 v6, v1
	ds_load_b32 v7, v19
	v_mov_b64_e32 v[2:3], 0
	v_mov_b64_e32 v[4:5], 0
	s_mov_b32 s18, exec_lo
	s_wait_dscnt 0x0
	v_cmpx_eq_u32_e64 v6, v7
; %bb.24:                               ;   in Loop: Header=BB27_4 Depth=1
	ds_load_b128 v[2:5], v20
; %bb.25:                               ;   in Loop: Header=BB27_4 Depth=1
	s_or_b32 exec_lo, exec_lo, s18
.LBB27_26:                              ;   in Loop: Header=BB27_4 Depth=1
	;; [unrolled: 60-line block ×3, first 2 shown]
	s_delay_alu instid0(SALU_CYCLE_1)
	s_or_b32 exec_lo, exec_lo, s1
	s_wait_dscnt 0x0
	s_barrier_signal -1
	s_barrier_wait -1
	ds_load_b128 v[6:9], v10
	s_wait_dscnt 0x0
	v_add_f64_e32 v[6:7], v[2:3], v[6:7]
	v_add_f64_e32 v[8:9], v[4:5], v[8:9]
	v_mov_b64_e32 v[4:5], 0
	v_mov_b64_e32 v[2:3], 0
	ds_store_b128 v10, v[6:9]
	s_wait_dscnt 0x0
	s_barrier_signal -1
	s_barrier_wait -1
	s_and_saveexec_b32 s1, s16
	s_cbranch_execz .LBB27_38
; %bb.35:                               ;   in Loop: Header=BB27_4 Depth=1
	ds_load_b32 v6, v1
	ds_load_b32 v7, v25
	v_mov_b64_e32 v[2:3], 0
	v_mov_b64_e32 v[4:5], 0
	s_mov_b32 s18, exec_lo
	s_wait_dscnt 0x0
	v_cmpx_eq_u32_e64 v6, v7
; %bb.36:                               ;   in Loop: Header=BB27_4 Depth=1
	ds_load_b128 v[2:5], v26
; %bb.37:                               ;   in Loop: Header=BB27_4 Depth=1
	s_or_b32 exec_lo, exec_lo, s18
.LBB27_38:                              ;   in Loop: Header=BB27_4 Depth=1
	s_delay_alu instid0(SALU_CYCLE_1)
	s_or_b32 exec_lo, exec_lo, s1
	s_wait_dscnt 0x0
	s_barrier_signal -1
	s_barrier_wait -1
	ds_load_b128 v[6:9], v10
	s_wait_dscnt 0x0
	v_add_f64_e32 v[2:3], v[2:3], v[6:7]
	v_add_f64_e32 v[4:5], v[4:5], v[8:9]
	ds_store_b128 v10, v[2:5]
	s_wait_dscnt 0x0
	s_barrier_signal -1
	s_barrier_wait -1
	ds_load_b32 v2, v1
	v_mov_b32_e32 v3, -1
	s_and_saveexec_b32 s0, vcc_lo
; %bb.39:                               ;   in Loop: Header=BB27_4 Depth=1
	ds_load_b32 v3, v1 offset:4
; %bb.40:                               ;   in Loop: Header=BB27_4 Depth=1
	s_or_b32 exec_lo, exec_lo, s0
	s_wait_dscnt 0x0
	v_cmp_ne_u32_e64 s0, v2, v3
	v_cmp_lt_i32_e64 s1, -1, v2
	s_and_b32 s1, s1, s0
	s_delay_alu instid0(SALU_CYCLE_1)
	s_and_saveexec_b32 s0, s1
	s_cbranch_execz .LBB27_3
; %bb.41:                               ;   in Loop: Header=BB27_4 Depth=1
	s_wait_kmcnt 0x0
	global_load_b128 v[4:7], v2, s[2:3] scale_offset
	ds_load_b128 v[28:31], v10
	s_wait_loadcnt_dscnt 0x0
	v_add_f64_e32 v[4:5], v[28:29], v[4:5]
	v_add_f64_e32 v[6:7], v[30:31], v[6:7]
	global_store_b128 v2, v[4:7], s[2:3] scale_offset
	s_branch .LBB27_3
.LBB27_42:
	s_endpgm
	.section	.rodata,"a",@progbits
	.p2align	6, 0x0
	.amdhsa_kernel _ZN9rocsparseL29coomvn_segmented_loops_reduceILj256Ei21rocsparse_complex_numIdES2_EEvT0_NS_24const_host_device_scalarIT2_EEPKS3_PKS5_PT1_b
		.amdhsa_group_segment_fixed_size 5120
		.amdhsa_private_segment_fixed_size 0
		.amdhsa_kernarg_size 52
		.amdhsa_user_sgpr_count 2
		.amdhsa_user_sgpr_dispatch_ptr 0
		.amdhsa_user_sgpr_queue_ptr 0
		.amdhsa_user_sgpr_kernarg_segment_ptr 1
		.amdhsa_user_sgpr_dispatch_id 0
		.amdhsa_user_sgpr_kernarg_preload_length 0
		.amdhsa_user_sgpr_kernarg_preload_offset 0
		.amdhsa_user_sgpr_private_segment_size 0
		.amdhsa_wavefront_size32 1
		.amdhsa_uses_dynamic_stack 0
		.amdhsa_enable_private_segment 0
		.amdhsa_system_sgpr_workgroup_id_x 1
		.amdhsa_system_sgpr_workgroup_id_y 0
		.amdhsa_system_sgpr_workgroup_id_z 0
		.amdhsa_system_sgpr_workgroup_info 0
		.amdhsa_system_vgpr_workitem_id 0
		.amdhsa_next_free_vgpr 32
		.amdhsa_next_free_sgpr 19
		.amdhsa_named_barrier_count 0
		.amdhsa_reserve_vcc 1
		.amdhsa_float_round_mode_32 0
		.amdhsa_float_round_mode_16_64 0
		.amdhsa_float_denorm_mode_32 3
		.amdhsa_float_denorm_mode_16_64 3
		.amdhsa_fp16_overflow 0
		.amdhsa_memory_ordered 1
		.amdhsa_forward_progress 1
		.amdhsa_inst_pref_size 14
		.amdhsa_round_robin_scheduling 0
		.amdhsa_exception_fp_ieee_invalid_op 0
		.amdhsa_exception_fp_denorm_src 0
		.amdhsa_exception_fp_ieee_div_zero 0
		.amdhsa_exception_fp_ieee_overflow 0
		.amdhsa_exception_fp_ieee_underflow 0
		.amdhsa_exception_fp_ieee_inexact 0
		.amdhsa_exception_int_div_zero 0
	.end_amdhsa_kernel
	.section	.text._ZN9rocsparseL29coomvn_segmented_loops_reduceILj256Ei21rocsparse_complex_numIdES2_EEvT0_NS_24const_host_device_scalarIT2_EEPKS3_PKS5_PT1_b,"axG",@progbits,_ZN9rocsparseL29coomvn_segmented_loops_reduceILj256Ei21rocsparse_complex_numIdES2_EEvT0_NS_24const_host_device_scalarIT2_EEPKS3_PKS5_PT1_b,comdat
.Lfunc_end27:
	.size	_ZN9rocsparseL29coomvn_segmented_loops_reduceILj256Ei21rocsparse_complex_numIdES2_EEvT0_NS_24const_host_device_scalarIT2_EEPKS3_PKS5_PT1_b, .Lfunc_end27-_ZN9rocsparseL29coomvn_segmented_loops_reduceILj256Ei21rocsparse_complex_numIdES2_EEvT0_NS_24const_host_device_scalarIT2_EEPKS3_PKS5_PT1_b
                                        ; -- End function
	.set _ZN9rocsparseL29coomvn_segmented_loops_reduceILj256Ei21rocsparse_complex_numIdES2_EEvT0_NS_24const_host_device_scalarIT2_EEPKS3_PKS5_PT1_b.num_vgpr, 32
	.set _ZN9rocsparseL29coomvn_segmented_loops_reduceILj256Ei21rocsparse_complex_numIdES2_EEvT0_NS_24const_host_device_scalarIT2_EEPKS3_PKS5_PT1_b.num_agpr, 0
	.set _ZN9rocsparseL29coomvn_segmented_loops_reduceILj256Ei21rocsparse_complex_numIdES2_EEvT0_NS_24const_host_device_scalarIT2_EEPKS3_PKS5_PT1_b.numbered_sgpr, 19
	.set _ZN9rocsparseL29coomvn_segmented_loops_reduceILj256Ei21rocsparse_complex_numIdES2_EEvT0_NS_24const_host_device_scalarIT2_EEPKS3_PKS5_PT1_b.num_named_barrier, 0
	.set _ZN9rocsparseL29coomvn_segmented_loops_reduceILj256Ei21rocsparse_complex_numIdES2_EEvT0_NS_24const_host_device_scalarIT2_EEPKS3_PKS5_PT1_b.private_seg_size, 0
	.set _ZN9rocsparseL29coomvn_segmented_loops_reduceILj256Ei21rocsparse_complex_numIdES2_EEvT0_NS_24const_host_device_scalarIT2_EEPKS3_PKS5_PT1_b.uses_vcc, 1
	.set _ZN9rocsparseL29coomvn_segmented_loops_reduceILj256Ei21rocsparse_complex_numIdES2_EEvT0_NS_24const_host_device_scalarIT2_EEPKS3_PKS5_PT1_b.uses_flat_scratch, 0
	.set _ZN9rocsparseL29coomvn_segmented_loops_reduceILj256Ei21rocsparse_complex_numIdES2_EEvT0_NS_24const_host_device_scalarIT2_EEPKS3_PKS5_PT1_b.has_dyn_sized_stack, 0
	.set _ZN9rocsparseL29coomvn_segmented_loops_reduceILj256Ei21rocsparse_complex_numIdES2_EEvT0_NS_24const_host_device_scalarIT2_EEPKS3_PKS5_PT1_b.has_recursion, 0
	.set _ZN9rocsparseL29coomvn_segmented_loops_reduceILj256Ei21rocsparse_complex_numIdES2_EEvT0_NS_24const_host_device_scalarIT2_EEPKS3_PKS5_PT1_b.has_indirect_call, 0
	.section	.AMDGPU.csdata,"",@progbits
; Kernel info:
; codeLenInByte = 1692
; TotalNumSgprs: 21
; NumVgprs: 32
; ScratchSize: 0
; MemoryBound: 0
; FloatMode: 240
; IeeeMode: 1
; LDSByteSize: 5120 bytes/workgroup (compile time only)
; SGPRBlocks: 0
; VGPRBlocks: 1
; NumSGPRsForWavesPerEU: 21
; NumVGPRsForWavesPerEU: 32
; NamedBarCnt: 0
; Occupancy: 16
; WaveLimiterHint : 0
; COMPUTE_PGM_RSRC2:SCRATCH_EN: 0
; COMPUTE_PGM_RSRC2:USER_SGPR: 2
; COMPUTE_PGM_RSRC2:TRAP_HANDLER: 0
; COMPUTE_PGM_RSRC2:TGID_X_EN: 1
; COMPUTE_PGM_RSRC2:TGID_Y_EN: 0
; COMPUTE_PGM_RSRC2:TGID_Z_EN: 0
; COMPUTE_PGM_RSRC2:TIDIG_COMP_CNT: 0
	.section	.text._ZN9rocsparseL23coomvn_aos_atomic_loopsILj256ELj1El21rocsparse_complex_numIdES2_S2_S2_EEvlNS_24const_host_device_scalarIT5_EEPKT1_PKT2_PKT3_PT4_21rocsparse_index_base_b,"axG",@progbits,_ZN9rocsparseL23coomvn_aos_atomic_loopsILj256ELj1El21rocsparse_complex_numIdES2_S2_S2_EEvlNS_24const_host_device_scalarIT5_EEPKT1_PKT2_PKT3_PT4_21rocsparse_index_base_b,comdat
	.globl	_ZN9rocsparseL23coomvn_aos_atomic_loopsILj256ELj1El21rocsparse_complex_numIdES2_S2_S2_EEvlNS_24const_host_device_scalarIT5_EEPKT1_PKT2_PKT3_PT4_21rocsparse_index_base_b ; -- Begin function _ZN9rocsparseL23coomvn_aos_atomic_loopsILj256ELj1El21rocsparse_complex_numIdES2_S2_S2_EEvlNS_24const_host_device_scalarIT5_EEPKT1_PKT2_PKT3_PT4_21rocsparse_index_base_b
	.p2align	8
	.type	_ZN9rocsparseL23coomvn_aos_atomic_loopsILj256ELj1El21rocsparse_complex_numIdES2_S2_S2_EEvlNS_24const_host_device_scalarIT5_EEPKT1_PKT2_PKT3_PT4_21rocsparse_index_base_b,@function
_ZN9rocsparseL23coomvn_aos_atomic_loopsILj256ELj1El21rocsparse_complex_numIdES2_S2_S2_EEvlNS_24const_host_device_scalarIT5_EEPKT1_PKT2_PKT3_PT4_21rocsparse_index_base_b: ; @_ZN9rocsparseL23coomvn_aos_atomic_loopsILj256ELj1El21rocsparse_complex_numIdES2_S2_S2_EEvlNS_24const_host_device_scalarIT5_EEPKT1_PKT2_PKT3_PT4_21rocsparse_index_base_b
; %bb.0:
	s_clause 0x1
	s_load_b64 s[8:9], s[0:1], 0x38
	s_load_b128 s[4:7], s[0:1], 0x0
	v_mov_b32_e32 v13, 0
	s_or_b64 s[2:3], s[0:1], 8
	s_wait_kmcnt 0x0
	s_bitcmp1_b32 s9, 0
	s_cselect_b32 s3, s3, s7
	s_cselect_b32 s2, s2, s6
	flat_load_b128 v[2:5], v13, s[2:3]
	s_wait_loadcnt_dscnt 0x0
	v_cmp_neq_f64_e32 vcc_lo, 0, v[2:3]
	v_cmp_neq_f64_e64 s2, 0, v[4:5]
	s_or_b32 s2, vcc_lo, s2
	s_delay_alu instid0(SALU_CYCLE_1)
	s_and_saveexec_b32 s3, s2
	s_cbranch_execz .LBB28_40
; %bb.1:
	s_bfe_u32 s2, ttmp6, 0x4000c
	v_mov_b64_e32 v[6:7], 0
	s_add_co_i32 s2, s2, 1
	s_and_b32 s3, ttmp6, 15
	s_mul_i32 s2, ttmp9, s2
	s_getreg_b32 s6, hwreg(HW_REG_IB_STS2, 6, 4)
	s_add_co_i32 s3, s3, s2
	s_cmp_eq_u32 s6, 0
	v_mov_b64_e32 v[10:11], -1
	s_cselect_b32 s2, ttmp9, s3
	v_mov_b64_e32 v[8:9], v[6:7]
	v_lshl_or_b32 v12, s2, 8, v0
	s_mov_b32 s9, 0
	s_mov_b32 s2, exec_lo
	s_delay_alu instid0(VALU_DEP_1)
	v_cmpx_gt_i64_e64 s[4:5], v[12:13]
	s_cbranch_execz .LBB28_3
; %bb.2:
	s_clause 0x1
	s_load_b128 s[4:7], s[0:1], 0x18
	s_load_b64 s[10:11], s[0:1], 0x28
	v_lshlrev_b64_e32 v[6:7], 4, v[12:13]
	s_wait_kmcnt 0x0
	s_delay_alu instid0(VALU_DEP_1)
	v_add_nc_u64_e32 v[8:9], s[4:5], v[6:7]
	v_add_nc_u64_e32 v[6:7], s[6:7], v[6:7]
	global_load_b128 v[10:13], v[8:9], off th:TH_LOAD_NT
	s_wait_loadcnt 0x0
	v_sub_nc_u64_e64 v[8:9], v[12:13], s[8:9]
	v_sub_nc_u64_e64 v[10:11], v[10:11], s[8:9]
	s_delay_alu instid0(VALU_DEP_2)
	v_lshl_add_u64 v[8:9], v[8:9], 4, s[10:11]
	global_load_b128 v[12:15], v[6:7], off th:TH_LOAD_NT
	global_load_b128 v[16:19], v[8:9], off
	s_wait_loadcnt 0x0
	v_mul_f64_e64 v[6:7], v[18:19], -v[14:15]
	v_mul_f64_e32 v[8:9], v[12:13], v[18:19]
	s_delay_alu instid0(VALU_DEP_2) | instskip(NEXT) | instid1(VALU_DEP_2)
	v_fmac_f64_e32 v[6:7], v[12:13], v[16:17]
	v_fmac_f64_e32 v[8:9], v[14:15], v[16:17]
.LBB28_3:
	s_or_b32 exec_lo, exec_lo, s2
	v_dual_lshlrev_b32 v13, 3, v0 :: v_dual_lshlrev_b32 v12, 4, v0
	s_mov_b32 s2, exec_lo
	ds_store_b64 v13, v[10:11] offset:4096
	ds_store_b128 v12, v[6:9]
	v_or_b32_e32 v1, 0x1000, v13
	s_wait_dscnt 0x0
	s_barrier_signal -1
	s_barrier_wait -1
	v_cmpx_ne_u32_e32 0, v0
	s_cbranch_execz .LBB28_7
; %bb.4:
	v_add_nc_u32_e32 v13, -8, v1
	s_mov_b32 s3, exec_lo
	ds_load_b64 v[14:15], v13
	s_wait_dscnt 0x0
	v_cmpx_eq_u64_e64 v[10:11], v[14:15]
	s_cbranch_execz .LBB28_6
; %bb.5:
	v_add_nc_u32_e32 v13, -16, v12
	ds_load_b128 v[14:17], v13
	s_wait_dscnt 0x0
	v_add_f64_e32 v[6:7], v[6:7], v[14:15]
	v_add_f64_e32 v[8:9], v[8:9], v[16:17]
.LBB28_6:
	s_or_b32 exec_lo, exec_lo, s3
.LBB28_7:
	s_delay_alu instid0(SALU_CYCLE_1) | instskip(NEXT) | instid1(SALU_CYCLE_1)
	s_or_b32 exec_lo, exec_lo, s2
	s_mov_b32 s2, exec_lo
	s_barrier_signal -1
	s_barrier_wait -1
	ds_store_b128 v12, v[6:9]
	s_wait_dscnt 0x0
	s_barrier_signal -1
	s_barrier_wait -1
	v_cmpx_lt_u32_e32 1, v0
	s_cbranch_execz .LBB28_11
; %bb.8:
	v_add_nc_u32_e32 v13, -16, v1
	s_mov_b32 s3, exec_lo
	ds_load_b64 v[14:15], v13
	s_wait_dscnt 0x0
	v_cmpx_eq_u64_e64 v[10:11], v[14:15]
	s_cbranch_execz .LBB28_10
; %bb.9:
	v_subrev_nc_u32_e32 v13, 32, v12
	ds_load_b128 v[14:17], v13
	s_wait_dscnt 0x0
	v_add_f64_e32 v[6:7], v[6:7], v[14:15]
	v_add_f64_e32 v[8:9], v[8:9], v[16:17]
.LBB28_10:
	s_or_b32 exec_lo, exec_lo, s3
.LBB28_11:
	s_delay_alu instid0(SALU_CYCLE_1) | instskip(NEXT) | instid1(SALU_CYCLE_1)
	s_or_b32 exec_lo, exec_lo, s2
	s_mov_b32 s2, exec_lo
	s_barrier_signal -1
	s_barrier_wait -1
	ds_store_b128 v12, v[6:9]
	s_wait_dscnt 0x0
	s_barrier_signal -1
	s_barrier_wait -1
	v_cmpx_lt_u32_e32 3, v0
	s_cbranch_execz .LBB28_15
; %bb.12:
	v_subrev_nc_u32_e32 v13, 32, v1
	s_mov_b32 s3, exec_lo
	ds_load_b64 v[14:15], v13
	s_wait_dscnt 0x0
	v_cmpx_eq_u64_e64 v[10:11], v[14:15]
	s_cbranch_execz .LBB28_14
; %bb.13:
	v_subrev_nc_u32_e32 v13, 64, v12
	ds_load_b128 v[14:17], v13
	s_wait_dscnt 0x0
	v_add_f64_e32 v[6:7], v[6:7], v[14:15]
	v_add_f64_e32 v[8:9], v[8:9], v[16:17]
.LBB28_14:
	s_or_b32 exec_lo, exec_lo, s3
.LBB28_15:
	s_delay_alu instid0(SALU_CYCLE_1) | instskip(NEXT) | instid1(SALU_CYCLE_1)
	s_or_b32 exec_lo, exec_lo, s2
	s_mov_b32 s2, exec_lo
	s_barrier_signal -1
	s_barrier_wait -1
	ds_store_b128 v12, v[6:9]
	s_wait_dscnt 0x0
	s_barrier_signal -1
	s_barrier_wait -1
	v_cmpx_lt_u32_e32 7, v0
	s_cbranch_execz .LBB28_19
; %bb.16:
	v_subrev_nc_u32_e32 v13, 64, v1
	s_mov_b32 s3, exec_lo
	ds_load_b64 v[14:15], v13
	s_wait_dscnt 0x0
	v_cmpx_eq_u64_e64 v[10:11], v[14:15]
	s_cbranch_execz .LBB28_18
; %bb.17:
	v_add_nc_u32_e32 v13, 0xffffff80, v12
	ds_load_b128 v[14:17], v13
	s_wait_dscnt 0x0
	v_add_f64_e32 v[6:7], v[6:7], v[14:15]
	v_add_f64_e32 v[8:9], v[8:9], v[16:17]
.LBB28_18:
	s_or_b32 exec_lo, exec_lo, s3
.LBB28_19:
	s_delay_alu instid0(SALU_CYCLE_1) | instskip(NEXT) | instid1(SALU_CYCLE_1)
	s_or_b32 exec_lo, exec_lo, s2
	s_mov_b32 s2, exec_lo
	s_barrier_signal -1
	s_barrier_wait -1
	ds_store_b128 v12, v[6:9]
	s_wait_dscnt 0x0
	s_barrier_signal -1
	s_barrier_wait -1
	v_cmpx_lt_u32_e32 15, v0
	s_cbranch_execz .LBB28_23
; %bb.20:
	v_add_nc_u32_e32 v13, 0xffffff80, v1
	s_mov_b32 s3, exec_lo
	ds_load_b64 v[14:15], v13
	s_wait_dscnt 0x0
	v_cmpx_eq_u64_e64 v[10:11], v[14:15]
	s_cbranch_execz .LBB28_22
; %bb.21:
	v_add_nc_u32_e32 v13, 0xffffff00, v12
	ds_load_b128 v[14:17], v13
	s_wait_dscnt 0x0
	v_add_f64_e32 v[6:7], v[6:7], v[14:15]
	v_add_f64_e32 v[8:9], v[8:9], v[16:17]
.LBB28_22:
	s_or_b32 exec_lo, exec_lo, s3
.LBB28_23:
	s_delay_alu instid0(SALU_CYCLE_1) | instskip(NEXT) | instid1(SALU_CYCLE_1)
	s_or_b32 exec_lo, exec_lo, s2
	s_mov_b32 s2, exec_lo
	s_barrier_signal -1
	s_barrier_wait -1
	ds_store_b128 v12, v[6:9]
	s_wait_dscnt 0x0
	s_barrier_signal -1
	s_barrier_wait -1
	v_cmpx_lt_u32_e32 31, v0
	s_cbranch_execz .LBB28_27
; %bb.24:
	v_add_nc_u32_e32 v13, 0xffffff00, v1
	s_mov_b32 s3, exec_lo
	ds_load_b64 v[14:15], v13
	s_wait_dscnt 0x0
	v_cmpx_eq_u64_e64 v[10:11], v[14:15]
	s_cbranch_execz .LBB28_26
; %bb.25:
	v_add_nc_u32_e32 v13, 0xfffffe00, v12
	ds_load_b128 v[14:17], v13
	s_wait_dscnt 0x0
	v_add_f64_e32 v[6:7], v[6:7], v[14:15]
	v_add_f64_e32 v[8:9], v[8:9], v[16:17]
.LBB28_26:
	s_or_b32 exec_lo, exec_lo, s3
.LBB28_27:
	;; [unrolled: 27-line block ×4, first 2 shown]
	s_delay_alu instid0(SALU_CYCLE_1)
	s_or_b32 exec_lo, exec_lo, s2
	s_load_b64 s[2:3], s[0:1], 0x30
	s_wait_xcnt 0x0
	s_mov_b32 s1, exec_lo
	s_barrier_signal -1
	s_barrier_wait -1
	ds_store_b128 v12, v[6:9]
	s_wait_dscnt 0x0
	s_barrier_signal -1
	s_barrier_wait -1
	v_cmpx_gt_u32_e32 0xff, v0
	s_cbranch_execz .LBB28_38
; %bb.36:
	ds_load_b64 v[12:13], v1 offset:8
	v_cmp_lt_i64_e64 s0, -1, v[10:11]
	s_wait_dscnt 0x0
	v_cmp_ne_u64_e32 vcc_lo, v[10:11], v[12:13]
	s_and_b32 s0, s0, vcc_lo
	s_delay_alu instid0(SALU_CYCLE_1)
	s_and_b32 exec_lo, exec_lo, s0
	s_cbranch_execz .LBB28_38
; %bb.37:
	v_mul_f64_e64 v[12:13], v[8:9], -v[4:5]
	v_mul_f64_e32 v[14:15], v[2:3], v[8:9]
	s_wait_kmcnt 0x0
	v_lshl_add_u64 v[16:17], v[10:11], 4, s[2:3]
	s_delay_alu instid0(VALU_DEP_3) | instskip(NEXT) | instid1(VALU_DEP_3)
	v_fmac_f64_e32 v[12:13], v[2:3], v[6:7]
	v_fmac_f64_e32 v[14:15], v[4:5], v[6:7]
	global_atomic_add_f64 v[16:17], v[12:13], off scope:SCOPE_DEV
	s_wait_xcnt 0x0
	global_atomic_add_f64 v[16:17], v[14:15], off offset:8 scope:SCOPE_DEV
.LBB28_38:
	s_wait_xcnt 0x0
	s_or_b32 exec_lo, exec_lo, s1
	v_cmp_lt_i64_e32 vcc_lo, -1, v[10:11]
	v_cmp_eq_u32_e64 s0, 0xff, v0
	s_and_b32 s0, s0, vcc_lo
	s_delay_alu instid0(SALU_CYCLE_1)
	s_and_b32 exec_lo, exec_lo, s0
	s_cbranch_execz .LBB28_40
; %bb.39:
	v_mul_f64_e64 v[0:1], v[8:9], -v[4:5]
	v_mul_f64_e32 v[8:9], v[2:3], v[8:9]
	s_delay_alu instid0(VALU_DEP_2) | instskip(NEXT) | instid1(VALU_DEP_2)
	v_fmac_f64_e32 v[0:1], v[2:3], v[6:7]
	v_fmac_f64_e32 v[8:9], v[4:5], v[6:7]
	s_wait_kmcnt 0x0
	v_lshl_add_u64 v[2:3], v[10:11], 4, s[2:3]
	global_atomic_add_f64 v[2:3], v[0:1], off scope:SCOPE_DEV
	s_wait_xcnt 0x0
	global_atomic_add_f64 v[2:3], v[8:9], off offset:8 scope:SCOPE_DEV
.LBB28_40:
	s_endpgm
	.section	.rodata,"a",@progbits
	.p2align	6, 0x0
	.amdhsa_kernel _ZN9rocsparseL23coomvn_aos_atomic_loopsILj256ELj1El21rocsparse_complex_numIdES2_S2_S2_EEvlNS_24const_host_device_scalarIT5_EEPKT1_PKT2_PKT3_PT4_21rocsparse_index_base_b
		.amdhsa_group_segment_fixed_size 6144
		.amdhsa_private_segment_fixed_size 0
		.amdhsa_kernarg_size 64
		.amdhsa_user_sgpr_count 2
		.amdhsa_user_sgpr_dispatch_ptr 0
		.amdhsa_user_sgpr_queue_ptr 0
		.amdhsa_user_sgpr_kernarg_segment_ptr 1
		.amdhsa_user_sgpr_dispatch_id 0
		.amdhsa_user_sgpr_kernarg_preload_length 0
		.amdhsa_user_sgpr_kernarg_preload_offset 0
		.amdhsa_user_sgpr_private_segment_size 0
		.amdhsa_wavefront_size32 1
		.amdhsa_uses_dynamic_stack 0
		.amdhsa_enable_private_segment 0
		.amdhsa_system_sgpr_workgroup_id_x 1
		.amdhsa_system_sgpr_workgroup_id_y 0
		.amdhsa_system_sgpr_workgroup_id_z 0
		.amdhsa_system_sgpr_workgroup_info 0
		.amdhsa_system_vgpr_workitem_id 0
		.amdhsa_next_free_vgpr 20
		.amdhsa_next_free_sgpr 12
		.amdhsa_named_barrier_count 0
		.amdhsa_reserve_vcc 1
		.amdhsa_float_round_mode_32 0
		.amdhsa_float_round_mode_16_64 0
		.amdhsa_float_denorm_mode_32 3
		.amdhsa_float_denorm_mode_16_64 3
		.amdhsa_fp16_overflow 0
		.amdhsa_memory_ordered 1
		.amdhsa_forward_progress 1
		.amdhsa_inst_pref_size 12
		.amdhsa_round_robin_scheduling 0
		.amdhsa_exception_fp_ieee_invalid_op 0
		.amdhsa_exception_fp_denorm_src 0
		.amdhsa_exception_fp_ieee_div_zero 0
		.amdhsa_exception_fp_ieee_overflow 0
		.amdhsa_exception_fp_ieee_underflow 0
		.amdhsa_exception_fp_ieee_inexact 0
		.amdhsa_exception_int_div_zero 0
	.end_amdhsa_kernel
	.section	.text._ZN9rocsparseL23coomvn_aos_atomic_loopsILj256ELj1El21rocsparse_complex_numIdES2_S2_S2_EEvlNS_24const_host_device_scalarIT5_EEPKT1_PKT2_PKT3_PT4_21rocsparse_index_base_b,"axG",@progbits,_ZN9rocsparseL23coomvn_aos_atomic_loopsILj256ELj1El21rocsparse_complex_numIdES2_S2_S2_EEvlNS_24const_host_device_scalarIT5_EEPKT1_PKT2_PKT3_PT4_21rocsparse_index_base_b,comdat
.Lfunc_end28:
	.size	_ZN9rocsparseL23coomvn_aos_atomic_loopsILj256ELj1El21rocsparse_complex_numIdES2_S2_S2_EEvlNS_24const_host_device_scalarIT5_EEPKT1_PKT2_PKT3_PT4_21rocsparse_index_base_b, .Lfunc_end28-_ZN9rocsparseL23coomvn_aos_atomic_loopsILj256ELj1El21rocsparse_complex_numIdES2_S2_S2_EEvlNS_24const_host_device_scalarIT5_EEPKT1_PKT2_PKT3_PT4_21rocsparse_index_base_b
                                        ; -- End function
	.set _ZN9rocsparseL23coomvn_aos_atomic_loopsILj256ELj1El21rocsparse_complex_numIdES2_S2_S2_EEvlNS_24const_host_device_scalarIT5_EEPKT1_PKT2_PKT3_PT4_21rocsparse_index_base_b.num_vgpr, 20
	.set _ZN9rocsparseL23coomvn_aos_atomic_loopsILj256ELj1El21rocsparse_complex_numIdES2_S2_S2_EEvlNS_24const_host_device_scalarIT5_EEPKT1_PKT2_PKT3_PT4_21rocsparse_index_base_b.num_agpr, 0
	.set _ZN9rocsparseL23coomvn_aos_atomic_loopsILj256ELj1El21rocsparse_complex_numIdES2_S2_S2_EEvlNS_24const_host_device_scalarIT5_EEPKT1_PKT2_PKT3_PT4_21rocsparse_index_base_b.numbered_sgpr, 12
	.set _ZN9rocsparseL23coomvn_aos_atomic_loopsILj256ELj1El21rocsparse_complex_numIdES2_S2_S2_EEvlNS_24const_host_device_scalarIT5_EEPKT1_PKT2_PKT3_PT4_21rocsparse_index_base_b.num_named_barrier, 0
	.set _ZN9rocsparseL23coomvn_aos_atomic_loopsILj256ELj1El21rocsparse_complex_numIdES2_S2_S2_EEvlNS_24const_host_device_scalarIT5_EEPKT1_PKT2_PKT3_PT4_21rocsparse_index_base_b.private_seg_size, 0
	.set _ZN9rocsparseL23coomvn_aos_atomic_loopsILj256ELj1El21rocsparse_complex_numIdES2_S2_S2_EEvlNS_24const_host_device_scalarIT5_EEPKT1_PKT2_PKT3_PT4_21rocsparse_index_base_b.uses_vcc, 1
	.set _ZN9rocsparseL23coomvn_aos_atomic_loopsILj256ELj1El21rocsparse_complex_numIdES2_S2_S2_EEvlNS_24const_host_device_scalarIT5_EEPKT1_PKT2_PKT3_PT4_21rocsparse_index_base_b.uses_flat_scratch, 0
	.set _ZN9rocsparseL23coomvn_aos_atomic_loopsILj256ELj1El21rocsparse_complex_numIdES2_S2_S2_EEvlNS_24const_host_device_scalarIT5_EEPKT1_PKT2_PKT3_PT4_21rocsparse_index_base_b.has_dyn_sized_stack, 0
	.set _ZN9rocsparseL23coomvn_aos_atomic_loopsILj256ELj1El21rocsparse_complex_numIdES2_S2_S2_EEvlNS_24const_host_device_scalarIT5_EEPKT1_PKT2_PKT3_PT4_21rocsparse_index_base_b.has_recursion, 0
	.set _ZN9rocsparseL23coomvn_aos_atomic_loopsILj256ELj1El21rocsparse_complex_numIdES2_S2_S2_EEvlNS_24const_host_device_scalarIT5_EEPKT1_PKT2_PKT3_PT4_21rocsparse_index_base_b.has_indirect_call, 0
	.section	.AMDGPU.csdata,"",@progbits
; Kernel info:
; codeLenInByte = 1500
; TotalNumSgprs: 14
; NumVgprs: 20
; ScratchSize: 0
; MemoryBound: 1
; FloatMode: 240
; IeeeMode: 1
; LDSByteSize: 6144 bytes/workgroup (compile time only)
; SGPRBlocks: 0
; VGPRBlocks: 1
; NumSGPRsForWavesPerEU: 14
; NumVGPRsForWavesPerEU: 20
; NamedBarCnt: 0
; Occupancy: 16
; WaveLimiterHint : 1
; COMPUTE_PGM_RSRC2:SCRATCH_EN: 0
; COMPUTE_PGM_RSRC2:USER_SGPR: 2
; COMPUTE_PGM_RSRC2:TRAP_HANDLER: 0
; COMPUTE_PGM_RSRC2:TGID_X_EN: 1
; COMPUTE_PGM_RSRC2:TGID_Y_EN: 0
; COMPUTE_PGM_RSRC2:TGID_Z_EN: 0
; COMPUTE_PGM_RSRC2:TIDIG_COMP_CNT: 0
	.section	.text._ZN9rocsparseL17coomvt_aos_kernelILj1024El21rocsparse_complex_numIdES2_S2_S2_EEv20rocsparse_operation_lNS_24const_host_device_scalarIT4_EEPKT0_PKT1_PKT2_PT3_21rocsparse_index_base_b,"axG",@progbits,_ZN9rocsparseL17coomvt_aos_kernelILj1024El21rocsparse_complex_numIdES2_S2_S2_EEv20rocsparse_operation_lNS_24const_host_device_scalarIT4_EEPKT0_PKT1_PKT2_PT3_21rocsparse_index_base_b,comdat
	.globl	_ZN9rocsparseL17coomvt_aos_kernelILj1024El21rocsparse_complex_numIdES2_S2_S2_EEv20rocsparse_operation_lNS_24const_host_device_scalarIT4_EEPKT0_PKT1_PKT2_PT3_21rocsparse_index_base_b ; -- Begin function _ZN9rocsparseL17coomvt_aos_kernelILj1024El21rocsparse_complex_numIdES2_S2_S2_EEv20rocsparse_operation_lNS_24const_host_device_scalarIT4_EEPKT0_PKT1_PKT2_PT3_21rocsparse_index_base_b
	.p2align	8
	.type	_ZN9rocsparseL17coomvt_aos_kernelILj1024El21rocsparse_complex_numIdES2_S2_S2_EEv20rocsparse_operation_lNS_24const_host_device_scalarIT4_EEPKT0_PKT1_PKT2_PT3_21rocsparse_index_base_b,@function
_ZN9rocsparseL17coomvt_aos_kernelILj1024El21rocsparse_complex_numIdES2_S2_S2_EEv20rocsparse_operation_lNS_24const_host_device_scalarIT4_EEPKT0_PKT1_PKT2_PT3_21rocsparse_index_base_b: ; @_ZN9rocsparseL17coomvt_aos_kernelILj1024El21rocsparse_complex_numIdES2_S2_S2_EEv20rocsparse_operation_lNS_24const_host_device_scalarIT4_EEPKT0_PKT1_PKT2_PT3_21rocsparse_index_base_b
; %bb.0:
	s_clause 0x1
	s_load_b64 s[12:13], s[0:1], 0x40
	s_load_b128 s[4:7], s[0:1], 0x8
	v_mov_b32_e32 v1, 0
	s_add_nc_u64 s[2:3], s[0:1], 16
	s_wait_kmcnt 0x0
	s_bitcmp1_b32 s13, 0
	s_cselect_b32 s3, s3, s7
	s_cselect_b32 s2, s2, s6
	flat_load_b128 v[2:5], v1, s[2:3]
	s_wait_loadcnt_dscnt 0x0
	v_cmp_neq_f64_e32 vcc_lo, 0, v[2:3]
	v_cmp_neq_f64_e64 s2, 0, v[4:5]
	s_or_b32 s2, vcc_lo, s2
	s_delay_alu instid0(SALU_CYCLE_1)
	s_and_saveexec_b32 s3, s2
	s_cbranch_execz .LBB29_3
; %bb.1:
	s_load_b32 s2, s[0:1], 0x54
	s_bfe_u32 s3, ttmp6, 0x4000c
	s_and_b32 s6, ttmp6, 15
	s_add_co_i32 s3, s3, 1
	s_getreg_b32 s7, hwreg(HW_REG_IB_STS2, 6, 4)
	s_mul_i32 s3, ttmp9, s3
	s_mov_b32 s13, 0
	s_add_co_i32 s6, s6, s3
	s_wait_kmcnt 0x0
	s_and_b32 s2, s2, 0xffff
	s_cmp_eq_u32 s7, 0
	s_cselect_b32 s3, ttmp9, s6
	s_delay_alu instid0(SALU_CYCLE_1) | instskip(NEXT) | instid1(VALU_DEP_1)
	v_mad_u32 v0, s3, s2, v0
	v_cmp_gt_i64_e32 vcc_lo, s[4:5], v[0:1]
	s_and_b32 exec_lo, exec_lo, vcc_lo
	s_cbranch_execz .LBB29_3
; %bb.2:
	s_load_b256 s[4:11], s[0:1], 0x20
	v_lshlrev_b64_e32 v[0:1], 4, v[0:1]
	s_wait_xcnt 0x0
	s_load_b32 s0, s[0:1], 0x0
	s_wait_kmcnt 0x0
	s_delay_alu instid0(VALU_DEP_1)
	v_add_nc_u64_e32 v[6:7], s[4:5], v[0:1]
	v_add_nc_u64_e32 v[0:1], s[6:7], v[0:1]
	s_cmp_eq_u32 s0, 0x71
	s_cselect_b32 vcc_lo, -1, 0
	global_load_b128 v[6:9], v[6:7], off
	global_load_b128 v[10:13], v[0:1], off
	s_wait_loadcnt 0x1
	s_wait_xcnt 0x0
	v_sub_nc_u64_e64 v[0:1], v[6:7], s[12:13]
	s_delay_alu instid0(VALU_DEP_1) | instskip(SKIP_4) | instid1(VALU_DEP_1)
	v_lshl_add_u64 v[0:1], v[0:1], 4, s[8:9]
	global_load_b128 v[14:17], v[0:1], off
	s_wait_loadcnt 0x1
	s_wait_xcnt 0x0
	v_xor_b32_e32 v0, 0x80000000, v13
	v_cndmask_b32_e32 v13, v13, v0, vcc_lo
	s_delay_alu instid0(VALU_DEP_1) | instskip(SKIP_1) | instid1(VALU_DEP_2)
	v_mul_f64_e32 v[0:1], v[2:3], v[12:13]
	v_mul_f64_e64 v[6:7], v[12:13], -v[4:5]
	v_fmac_f64_e32 v[0:1], v[4:5], v[10:11]
	s_delay_alu instid0(VALU_DEP_2) | instskip(SKIP_1) | instid1(VALU_DEP_2)
	v_fmac_f64_e32 v[6:7], v[2:3], v[10:11]
	s_wait_loadcnt 0x0
	v_mul_f64_e64 v[2:3], v[16:17], -v[0:1]
	s_delay_alu instid0(VALU_DEP_2) | instskip(NEXT) | instid1(VALU_DEP_2)
	v_mul_f64_e32 v[4:5], v[6:7], v[16:17]
	v_fmac_f64_e32 v[2:3], v[6:7], v[14:15]
	s_delay_alu instid0(VALU_DEP_2) | instskip(SKIP_1) | instid1(VALU_DEP_1)
	v_fmac_f64_e32 v[4:5], v[0:1], v[14:15]
	v_sub_nc_u64_e64 v[0:1], v[8:9], s[12:13]
	v_lshl_add_u64 v[0:1], v[0:1], 4, s[10:11]
	global_atomic_add_f64 v[0:1], v[2:3], off scope:SCOPE_DEV
	s_wait_xcnt 0x0
	global_atomic_add_f64 v[0:1], v[4:5], off offset:8 scope:SCOPE_DEV
.LBB29_3:
	s_endpgm
	.section	.rodata,"a",@progbits
	.p2align	6, 0x0
	.amdhsa_kernel _ZN9rocsparseL17coomvt_aos_kernelILj1024El21rocsparse_complex_numIdES2_S2_S2_EEv20rocsparse_operation_lNS_24const_host_device_scalarIT4_EEPKT0_PKT1_PKT2_PT3_21rocsparse_index_base_b
		.amdhsa_group_segment_fixed_size 0
		.amdhsa_private_segment_fixed_size 0
		.amdhsa_kernarg_size 328
		.amdhsa_user_sgpr_count 2
		.amdhsa_user_sgpr_dispatch_ptr 0
		.amdhsa_user_sgpr_queue_ptr 0
		.amdhsa_user_sgpr_kernarg_segment_ptr 1
		.amdhsa_user_sgpr_dispatch_id 0
		.amdhsa_user_sgpr_kernarg_preload_length 0
		.amdhsa_user_sgpr_kernarg_preload_offset 0
		.amdhsa_user_sgpr_private_segment_size 0
		.amdhsa_wavefront_size32 1
		.amdhsa_uses_dynamic_stack 0
		.amdhsa_enable_private_segment 0
		.amdhsa_system_sgpr_workgroup_id_x 1
		.amdhsa_system_sgpr_workgroup_id_y 0
		.amdhsa_system_sgpr_workgroup_id_z 0
		.amdhsa_system_sgpr_workgroup_info 0
		.amdhsa_system_vgpr_workitem_id 0
		.amdhsa_next_free_vgpr 18
		.amdhsa_next_free_sgpr 14
		.amdhsa_named_barrier_count 0
		.amdhsa_reserve_vcc 1
		.amdhsa_float_round_mode_32 0
		.amdhsa_float_round_mode_16_64 0
		.amdhsa_float_denorm_mode_32 3
		.amdhsa_float_denorm_mode_16_64 3
		.amdhsa_fp16_overflow 0
		.amdhsa_memory_ordered 1
		.amdhsa_forward_progress 1
		.amdhsa_inst_pref_size 4
		.amdhsa_round_robin_scheduling 0
		.amdhsa_exception_fp_ieee_invalid_op 0
		.amdhsa_exception_fp_denorm_src 0
		.amdhsa_exception_fp_ieee_div_zero 0
		.amdhsa_exception_fp_ieee_overflow 0
		.amdhsa_exception_fp_ieee_underflow 0
		.amdhsa_exception_fp_ieee_inexact 0
		.amdhsa_exception_int_div_zero 0
	.end_amdhsa_kernel
	.section	.text._ZN9rocsparseL17coomvt_aos_kernelILj1024El21rocsparse_complex_numIdES2_S2_S2_EEv20rocsparse_operation_lNS_24const_host_device_scalarIT4_EEPKT0_PKT1_PKT2_PT3_21rocsparse_index_base_b,"axG",@progbits,_ZN9rocsparseL17coomvt_aos_kernelILj1024El21rocsparse_complex_numIdES2_S2_S2_EEv20rocsparse_operation_lNS_24const_host_device_scalarIT4_EEPKT0_PKT1_PKT2_PT3_21rocsparse_index_base_b,comdat
.Lfunc_end29:
	.size	_ZN9rocsparseL17coomvt_aos_kernelILj1024El21rocsparse_complex_numIdES2_S2_S2_EEv20rocsparse_operation_lNS_24const_host_device_scalarIT4_EEPKT0_PKT1_PKT2_PT3_21rocsparse_index_base_b, .Lfunc_end29-_ZN9rocsparseL17coomvt_aos_kernelILj1024El21rocsparse_complex_numIdES2_S2_S2_EEv20rocsparse_operation_lNS_24const_host_device_scalarIT4_EEPKT0_PKT1_PKT2_PT3_21rocsparse_index_base_b
                                        ; -- End function
	.set _ZN9rocsparseL17coomvt_aos_kernelILj1024El21rocsparse_complex_numIdES2_S2_S2_EEv20rocsparse_operation_lNS_24const_host_device_scalarIT4_EEPKT0_PKT1_PKT2_PT3_21rocsparse_index_base_b.num_vgpr, 18
	.set _ZN9rocsparseL17coomvt_aos_kernelILj1024El21rocsparse_complex_numIdES2_S2_S2_EEv20rocsparse_operation_lNS_24const_host_device_scalarIT4_EEPKT0_PKT1_PKT2_PT3_21rocsparse_index_base_b.num_agpr, 0
	.set _ZN9rocsparseL17coomvt_aos_kernelILj1024El21rocsparse_complex_numIdES2_S2_S2_EEv20rocsparse_operation_lNS_24const_host_device_scalarIT4_EEPKT0_PKT1_PKT2_PT3_21rocsparse_index_base_b.numbered_sgpr, 14
	.set _ZN9rocsparseL17coomvt_aos_kernelILj1024El21rocsparse_complex_numIdES2_S2_S2_EEv20rocsparse_operation_lNS_24const_host_device_scalarIT4_EEPKT0_PKT1_PKT2_PT3_21rocsparse_index_base_b.num_named_barrier, 0
	.set _ZN9rocsparseL17coomvt_aos_kernelILj1024El21rocsparse_complex_numIdES2_S2_S2_EEv20rocsparse_operation_lNS_24const_host_device_scalarIT4_EEPKT0_PKT1_PKT2_PT3_21rocsparse_index_base_b.private_seg_size, 0
	.set _ZN9rocsparseL17coomvt_aos_kernelILj1024El21rocsparse_complex_numIdES2_S2_S2_EEv20rocsparse_operation_lNS_24const_host_device_scalarIT4_EEPKT0_PKT1_PKT2_PT3_21rocsparse_index_base_b.uses_vcc, 1
	.set _ZN9rocsparseL17coomvt_aos_kernelILj1024El21rocsparse_complex_numIdES2_S2_S2_EEv20rocsparse_operation_lNS_24const_host_device_scalarIT4_EEPKT0_PKT1_PKT2_PT3_21rocsparse_index_base_b.uses_flat_scratch, 0
	.set _ZN9rocsparseL17coomvt_aos_kernelILj1024El21rocsparse_complex_numIdES2_S2_S2_EEv20rocsparse_operation_lNS_24const_host_device_scalarIT4_EEPKT0_PKT1_PKT2_PT3_21rocsparse_index_base_b.has_dyn_sized_stack, 0
	.set _ZN9rocsparseL17coomvt_aos_kernelILj1024El21rocsparse_complex_numIdES2_S2_S2_EEv20rocsparse_operation_lNS_24const_host_device_scalarIT4_EEPKT0_PKT1_PKT2_PT3_21rocsparse_index_base_b.has_recursion, 0
	.set _ZN9rocsparseL17coomvt_aos_kernelILj1024El21rocsparse_complex_numIdES2_S2_S2_EEv20rocsparse_operation_lNS_24const_host_device_scalarIT4_EEPKT0_PKT1_PKT2_PT3_21rocsparse_index_base_b.has_indirect_call, 0
	.section	.AMDGPU.csdata,"",@progbits
; Kernel info:
; codeLenInByte = 416
; TotalNumSgprs: 16
; NumVgprs: 18
; ScratchSize: 0
; MemoryBound: 0
; FloatMode: 240
; IeeeMode: 1
; LDSByteSize: 0 bytes/workgroup (compile time only)
; SGPRBlocks: 0
; VGPRBlocks: 1
; NumSGPRsForWavesPerEU: 16
; NumVGPRsForWavesPerEU: 18
; NamedBarCnt: 0
; Occupancy: 16
; WaveLimiterHint : 1
; COMPUTE_PGM_RSRC2:SCRATCH_EN: 0
; COMPUTE_PGM_RSRC2:USER_SGPR: 2
; COMPUTE_PGM_RSRC2:TRAP_HANDLER: 0
; COMPUTE_PGM_RSRC2:TGID_X_EN: 1
; COMPUTE_PGM_RSRC2:TGID_Y_EN: 0
; COMPUTE_PGM_RSRC2:TGID_Z_EN: 0
; COMPUTE_PGM_RSRC2:TIDIG_COMP_CNT: 0
	.section	.text._ZN9rocsparseL26coomvn_aos_segmented_loopsILj256El21rocsparse_complex_numIdES2_S2_S2_EEvlT0_NS_24const_host_device_scalarIT4_EEPKS3_PKT1_PKT2_PT3_PS3_PS5_21rocsparse_index_base_b,"axG",@progbits,_ZN9rocsparseL26coomvn_aos_segmented_loopsILj256El21rocsparse_complex_numIdES2_S2_S2_EEvlT0_NS_24const_host_device_scalarIT4_EEPKS3_PKT1_PKT2_PT3_PS3_PS5_21rocsparse_index_base_b,comdat
	.globl	_ZN9rocsparseL26coomvn_aos_segmented_loopsILj256El21rocsparse_complex_numIdES2_S2_S2_EEvlT0_NS_24const_host_device_scalarIT4_EEPKS3_PKT1_PKT2_PT3_PS3_PS5_21rocsparse_index_base_b ; -- Begin function _ZN9rocsparseL26coomvn_aos_segmented_loopsILj256El21rocsparse_complex_numIdES2_S2_S2_EEvlT0_NS_24const_host_device_scalarIT4_EEPKS3_PKT1_PKT2_PT3_PS3_PS5_21rocsparse_index_base_b
	.p2align	8
	.type	_ZN9rocsparseL26coomvn_aos_segmented_loopsILj256El21rocsparse_complex_numIdES2_S2_S2_EEvlT0_NS_24const_host_device_scalarIT4_EEPKS3_PKT1_PKT2_PT3_PS3_PS5_21rocsparse_index_base_b,@function
_ZN9rocsparseL26coomvn_aos_segmented_loopsILj256El21rocsparse_complex_numIdES2_S2_S2_EEvlT0_NS_24const_host_device_scalarIT4_EEPKS3_PKT1_PKT2_PT3_PS3_PS5_21rocsparse_index_base_b: ; @_ZN9rocsparseL26coomvn_aos_segmented_loopsILj256El21rocsparse_complex_numIdES2_S2_S2_EEvlT0_NS_24const_host_device_scalarIT4_EEPKS3_PKT1_PKT2_PT3_PS3_PS5_21rocsparse_index_base_b
; %bb.0:
	s_clause 0x1
	s_load_b64 s[14:15], s[0:1], 0x50
	s_load_b64 s[2:3], s[0:1], 0x10
	v_mov_b32_e32 v1, 0
	s_add_nc_u64 s[4:5], s[0:1], 16
	s_wait_kmcnt 0x0
	s_bitcmp1_b32 s15, 0
	s_cselect_b32 s3, s5, s3
	s_cselect_b32 s2, s4, s2
	flat_load_b128 v[2:5], v1, s[2:3]
	s_wait_loadcnt_dscnt 0x0
	v_cmp_neq_f64_e32 vcc_lo, 0, v[2:3]
	v_cmp_neq_f64_e64 s2, 0, v[4:5]
	s_or_b32 s2, vcc_lo, s2
	s_delay_alu instid0(SALU_CYCLE_1)
	s_and_saveexec_b32 s3, s2
	s_cbranch_execz .LBB30_87
; %bb.1:
	s_clause 0x1
	s_load_b128 s[16:19], s[0:1], 0x0
	s_load_b128 s[20:23], s[0:1], 0x20
	s_bfe_u32 s2, ttmp6, 0x4000c
	s_load_b64 s[28:29], s[0:1], 0x30
	s_add_co_i32 s2, s2, 1
	s_and_b32 s3, ttmp6, 15
	s_mul_i32 s2, ttmp9, s2
	s_getreg_b32 s4, hwreg(HW_REG_IB_STS2, 6, 4)
	s_add_co_i32 s3, s3, s2
	v_mov_b64_e32 v[6:7], 0
	s_cmp_eq_u32 s4, 0
	s_mov_b32 s25, 0
	s_cselect_b32 s24, ttmp9, s3
	v_mov_b64_e32 v[10:11], -1
	s_delay_alu instid0(VALU_DEP_2) | instskip(SKIP_2) | instid1(SALU_CYCLE_1)
	v_mov_b64_e32 v[8:9], v[6:7]
	s_wait_kmcnt 0x0
	s_mul_u64 s[30:31], s[24:25], s[18:19]
	s_lshl_b64 s[2:3], s[30:31], 8
	s_delay_alu instid0(SALU_CYCLE_1) | instskip(SKIP_1) | instid1(VALU_DEP_1)
	v_dual_mov_b32 v15, s3 :: v_dual_bitop2_b32 v14, s2, v0 bitop3:0x54
	s_mov_b32 s2, exec_lo
	v_cmpx_gt_i64_e64 s[16:17], v[14:15]
	s_cbranch_execz .LBB30_3
; %bb.2:
	v_lshlrev_b64_e32 v[12:13], 4, v[14:15]
	s_mov_b32 s15, s25
	s_delay_alu instid0(VALU_DEP_1)
	v_add_nc_u64_e32 v[6:7], s[20:21], v[12:13]
	global_load_b128 v[6:9], v[6:7], off th:TH_LOAD_NT
	s_wait_loadcnt 0x0
	v_sub_nc_u64_e64 v[10:11], v[6:7], s[14:15]
	v_lshl_add_u64 v[6:7], v[8:9], 4, s[28:29]
	s_ashr_i32 s15, s14, 31
	v_add_nc_u64_e32 v[8:9], s[22:23], v[12:13]
	s_lshl_b64 s[4:5], s[14:15], 4
	s_delay_alu instid0(VALU_DEP_2) | instid1(SALU_CYCLE_1)
	v_sub_nc_u64_e64 v[6:7], v[6:7], s[4:5]
	global_load_b128 v[16:19], v[8:9], off th:TH_LOAD_NT
	global_load_b128 v[20:23], v[6:7], off
	s_wait_loadcnt 0x0
	v_mul_f64_e64 v[6:7], v[22:23], -v[18:19]
	v_mul_f64_e32 v[8:9], v[16:17], v[22:23]
	s_delay_alu instid0(VALU_DEP_2) | instskip(NEXT) | instid1(VALU_DEP_2)
	v_fmac_f64_e32 v[6:7], v[16:17], v[20:21]
	v_fmac_f64_e32 v[8:9], v[18:19], v[20:21]
.LBB30_3:
	s_or_b32 exec_lo, exec_lo, s2
	v_dual_lshlrev_b32 v13, 3, v0 :: v_dual_lshlrev_b32 v12, 4, v0
	v_cmp_eq_u32_e64 s2, 0, v0
	v_cmp_ne_u32_e64 s3, 0, v0
	ds_store_b64 v13, v[10:11] offset:4096
	ds_store_b128 v12, v[6:9]
	v_or_b32_e32 v1, 0x1000, v13
	s_wait_dscnt 0x0
	s_barrier_signal -1
	s_barrier_wait -1
	s_delay_alu instid0(VALU_DEP_1)
	v_add_nc_u32_e32 v18, -8, v1
	s_and_saveexec_b32 s4, s3
	s_cbranch_execz .LBB30_7
; %bb.4:
	ds_load_b64 v[16:17], v18
	s_mov_b32 s5, exec_lo
	s_wait_dscnt 0x0
	v_cmpx_eq_u64_e64 v[10:11], v[16:17]
	s_cbranch_execz .LBB30_6
; %bb.5:
	v_add_nc_u32_e32 v13, -16, v12
	ds_load_b128 v[20:23], v13
	s_wait_dscnt 0x0
	v_add_f64_e32 v[6:7], v[6:7], v[20:21]
	v_add_f64_e32 v[8:9], v[8:9], v[22:23]
.LBB30_6:
	s_or_b32 exec_lo, exec_lo, s5
.LBB30_7:
	s_delay_alu instid0(SALU_CYCLE_1)
	s_or_b32 exec_lo, exec_lo, s4
	v_cmp_lt_u32_e64 s4, 1, v0
	v_add_nc_u32_e32 v19, -16, v1
	s_barrier_signal -1
	s_barrier_wait -1
	ds_store_b128 v12, v[6:9]
	s_wait_dscnt 0x0
	s_barrier_signal -1
	s_barrier_wait -1
	s_and_saveexec_b32 s5, s4
	s_cbranch_execz .LBB30_11
; %bb.8:
	ds_load_b64 v[16:17], v19
	s_mov_b32 s6, exec_lo
	s_wait_dscnt 0x0
	v_cmpx_eq_u64_e64 v[10:11], v[16:17]
	s_cbranch_execz .LBB30_10
; %bb.9:
	v_subrev_nc_u32_e32 v13, 32, v12
	ds_load_b128 v[20:23], v13
	s_wait_dscnt 0x0
	v_add_f64_e32 v[6:7], v[6:7], v[20:21]
	v_add_f64_e32 v[8:9], v[8:9], v[22:23]
.LBB30_10:
	s_or_b32 exec_lo, exec_lo, s6
.LBB30_11:
	s_delay_alu instid0(SALU_CYCLE_1)
	s_or_b32 exec_lo, exec_lo, s5
	v_cmp_lt_u32_e64 s5, 3, v0
	v_subrev_nc_u32_e32 v20, 32, v1
	s_barrier_signal -1
	s_barrier_wait -1
	ds_store_b128 v12, v[6:9]
	s_wait_dscnt 0x0
	s_barrier_signal -1
	s_barrier_wait -1
	s_and_saveexec_b32 s6, s5
	s_cbranch_execz .LBB30_15
; %bb.12:
	ds_load_b64 v[16:17], v20
	s_mov_b32 s7, exec_lo
	s_wait_dscnt 0x0
	v_cmpx_eq_u64_e64 v[10:11], v[16:17]
	s_cbranch_execz .LBB30_14
; %bb.13:
	v_subrev_nc_u32_e32 v13, 64, v12
	ds_load_b128 v[22:25], v13
	s_wait_dscnt 0x0
	v_add_f64_e32 v[6:7], v[6:7], v[22:23]
	v_add_f64_e32 v[8:9], v[8:9], v[24:25]
.LBB30_14:
	s_or_b32 exec_lo, exec_lo, s7
.LBB30_15:
	s_delay_alu instid0(SALU_CYCLE_1)
	s_or_b32 exec_lo, exec_lo, s6
	v_cmp_lt_u32_e64 s6, 7, v0
	v_subrev_nc_u32_e32 v21, 64, v1
	s_barrier_signal -1
	s_barrier_wait -1
	ds_store_b128 v12, v[6:9]
	s_wait_dscnt 0x0
	s_barrier_signal -1
	s_barrier_wait -1
	s_and_saveexec_b32 s7, s6
	s_cbranch_execz .LBB30_19
; %bb.16:
	ds_load_b64 v[16:17], v21
	s_mov_b32 s8, exec_lo
	s_wait_dscnt 0x0
	v_cmpx_eq_u64_e64 v[10:11], v[16:17]
	s_cbranch_execz .LBB30_18
; %bb.17:
	v_add_nc_u32_e32 v13, 0xffffff80, v12
	ds_load_b128 v[22:25], v13
	s_wait_dscnt 0x0
	v_add_f64_e32 v[6:7], v[6:7], v[22:23]
	v_add_f64_e32 v[8:9], v[8:9], v[24:25]
.LBB30_18:
	s_or_b32 exec_lo, exec_lo, s8
.LBB30_19:
	s_delay_alu instid0(SALU_CYCLE_1)
	s_or_b32 exec_lo, exec_lo, s7
	v_cmp_lt_u32_e64 s7, 15, v0
	v_add_nc_u32_e32 v22, 0xffffff80, v1
	s_barrier_signal -1
	s_barrier_wait -1
	ds_store_b128 v12, v[6:9]
	s_wait_dscnt 0x0
	s_barrier_signal -1
	s_barrier_wait -1
	s_and_saveexec_b32 s8, s7
	s_cbranch_execz .LBB30_23
; %bb.20:
	ds_load_b64 v[16:17], v22
	s_mov_b32 s9, exec_lo
	s_wait_dscnt 0x0
	v_cmpx_eq_u64_e64 v[10:11], v[16:17]
	s_cbranch_execz .LBB30_22
; %bb.21:
	v_add_nc_u32_e32 v13, 0xffffff00, v12
	ds_load_b128 v[24:27], v13
	s_wait_dscnt 0x0
	v_add_f64_e32 v[6:7], v[6:7], v[24:25]
	v_add_f64_e32 v[8:9], v[8:9], v[26:27]
.LBB30_22:
	s_or_b32 exec_lo, exec_lo, s9
.LBB30_23:
	s_delay_alu instid0(SALU_CYCLE_1)
	s_or_b32 exec_lo, exec_lo, s8
	v_cmp_lt_u32_e64 s8, 31, v0
	v_add_nc_u32_e32 v23, 0xffffff00, v1
	;; [unrolled: 27-line block ×4, first 2 shown]
	s_barrier_signal -1
	s_barrier_wait -1
	ds_store_b128 v12, v[6:9]
	s_wait_dscnt 0x0
	s_barrier_signal -1
	s_barrier_wait -1
	s_and_saveexec_b32 s11, s10
	s_cbranch_execz .LBB30_35
; %bb.32:
	ds_load_b64 v[16:17], v25
	s_mov_b32 s12, exec_lo
	s_wait_dscnt 0x0
	v_cmpx_eq_u64_e64 v[10:11], v[16:17]
	s_cbranch_execz .LBB30_34
; %bb.33:
	v_add_nc_u32_e32 v13, 0xfffff800, v12
	ds_load_b128 v[26:29], v13
	s_wait_dscnt 0x0
	v_add_f64_e32 v[6:7], v[6:7], v[26:27]
	v_add_f64_e32 v[8:9], v[8:9], v[28:29]
.LBB30_34:
	s_or_b32 exec_lo, exec_lo, s12
.LBB30_35:
	s_delay_alu instid0(SALU_CYCLE_1)
	s_or_b32 exec_lo, exec_lo, s11
	s_load_b64 s[26:27], s[0:1], 0x38
	v_cmp_gt_u32_e64 s11, 0xff, v0
	s_barrier_signal -1
	s_barrier_wait -1
	ds_store_b128 v12, v[6:9]
	s_wait_dscnt 0x0
	s_barrier_signal -1
	s_barrier_wait -1
	s_and_saveexec_b32 s13, s11
	s_cbranch_execz .LBB30_38
; %bb.36:
	ds_load_b64 v[16:17], v1 offset:8
	v_cmp_lt_i64_e64 s12, -1, v[10:11]
	s_wait_dscnt 0x0
	v_cmp_ne_u64_e32 vcc_lo, v[10:11], v[16:17]
	s_and_b32 s12, s12, vcc_lo
	s_delay_alu instid0(SALU_CYCLE_1)
	s_and_b32 exec_lo, exec_lo, s12
	s_cbranch_execz .LBB30_38
; %bb.37:
	s_wait_kmcnt 0x0
	v_lshl_add_u64 v[16:17], v[10:11], 4, s[26:27]
	global_load_b128 v[26:29], v[16:17], off
	s_wait_loadcnt 0x0
	v_fmac_f64_e32 v[26:27], v[2:3], v[6:7]
	v_fmac_f64_e32 v[28:29], v[4:5], v[6:7]
	s_delay_alu instid0(VALU_DEP_2) | instskip(NEXT) | instid1(VALU_DEP_2)
	v_fma_f64 v[26:27], -v[4:5], v[8:9], v[26:27]
	v_fmac_f64_e32 v[28:29], v[2:3], v[8:9]
	global_store_b128 v[16:17], v[26:29], off
.LBB30_38:
	s_wait_xcnt 0x0
	s_or_b32 exec_lo, exec_lo, s13
	v_cmp_lt_i64_e64 s12, s[18:19], 2
	s_and_b32 vcc_lo, exec_lo, s12
	s_cbranch_vccnz .LBB30_85
; %bb.39:
	s_ashr_i32 s13, s14, 31
	s_mov_b32 s12, s14
	v_add_nc_u64_e32 v[14:15], 0x100, v[14:15]
	s_lshl_b64 s[12:13], s[12:13], 4
	v_dual_mov_b32 v13, 0 :: v_dual_add_nc_u32 v26, -16, v12
	v_subrev_nc_u32_e32 v27, 32, v12
	v_subrev_nc_u32_e32 v28, 64, v12
	v_add_nc_u32_e32 v29, 0xffffff80, v12
	v_add_nc_u32_e32 v30, 0xffffff00, v12
	;; [unrolled: 1-line block ×5, first 2 shown]
	s_sub_nc_u64 s[28:29], s[28:29], s[12:13]
	s_lshl_b64 s[12:13], s[30:31], 12
	s_add_nc_u64 s[18:19], s[18:19], -1
	s_mov_b32 s15, 0
	s_add_nc_u64 s[22:23], s[22:23], s[12:13]
	s_add_nc_u64 s[20:21], s[20:21], s[12:13]
	s_mov_b64 s[30:31], 0
	s_branch .LBB30_41
.LBB30_40:                              ;   in Loop: Header=BB30_41 Depth=1
	s_wait_xcnt 0x0
	s_or_b32 exec_lo, exec_lo, s13
	s_add_nc_u64 s[30:31], s[30:31], 1
	v_add_nc_u64_e32 v[14:15], 0x100, v[14:15]
	v_cmp_le_u64_e64 s12, s[18:19], s[30:31]
	s_add_nc_u64 s[22:23], s[22:23], 0x1000
	s_add_nc_u64 s[20:21], s[20:21], 0x1000
	s_and_b32 vcc_lo, exec_lo, s12
	s_cbranch_vccnz .LBB30_85
.LBB30_41:                              ; =>This Inner Loop Header: Depth=1
	v_mov_b64_e32 v[10:11], -1
	v_mov_b64_e32 v[6:7], 0
	v_mov_b64_e32 v[8:9], 0
	s_mov_b32 s12, exec_lo
	v_cmpx_gt_i64_e64 s[16:17], v[14:15]
	s_cbranch_execz .LBB30_43
; %bb.42:                               ;   in Loop: Header=BB30_41 Depth=1
	v_add_nc_u64_e32 v[6:7], s[20:21], v[12:13]
	global_load_b128 v[34:37], v[6:7], off offset:4096 th:TH_LOAD_NT
	s_wait_xcnt 0x0
	v_add_nc_u64_e32 v[6:7], s[22:23], v[12:13]
	s_wait_loadcnt 0x0
	v_lshl_add_u64 v[8:9], v[36:37], 4, s[28:29]
	v_sub_nc_u64_e64 v[10:11], v[34:35], s[14:15]
	global_load_b128 v[36:39], v[6:7], off offset:4096 th:TH_LOAD_NT
	global_load_b128 v[40:43], v[8:9], off
	s_wait_loadcnt 0x0
	s_wait_xcnt 0x1
	v_mul_f64_e64 v[6:7], v[42:43], -v[38:39]
	s_wait_xcnt 0x0
	v_mul_f64_e32 v[8:9], v[36:37], v[42:43]
	s_delay_alu instid0(VALU_DEP_2) | instskip(NEXT) | instid1(VALU_DEP_2)
	v_fmac_f64_e32 v[6:7], v[36:37], v[40:41]
	v_fmac_f64_e32 v[8:9], v[38:39], v[40:41]
.LBB30_43:                              ;   in Loop: Header=BB30_41 Depth=1
	s_or_b32 exec_lo, exec_lo, s12
	s_and_saveexec_b32 s12, s2
	s_cbranch_execz .LBB30_50
; %bb.44:                               ;   in Loop: Header=BB30_41 Depth=1
	ds_load_b64 v[16:17], v13 offset:6136
	s_mov_b32 s13, exec_lo
	s_wait_dscnt 0x0
	v_cmpx_ne_u64_e64 v[10:11], v[16:17]
	s_xor_b32 s13, exec_lo, s13
	s_cbranch_execz .LBB30_47
; %bb.45:                               ;   in Loop: Header=BB30_41 Depth=1
	v_cmp_gt_i64_e32 vcc_lo, 0, v[16:17]
	s_cbranch_vccnz .LBB30_47
; %bb.46:                               ;   in Loop: Header=BB30_41 Depth=1
	v_lshlrev_b64_e32 v[16:17], 4, v[16:17]
	ds_load_b128 v[38:41], v13 offset:4080
	s_wait_kmcnt 0x0
	v_add_nc_u64_e32 v[16:17], s[26:27], v[16:17]
	global_load_b128 v[34:37], v[16:17], off
	s_wait_loadcnt_dscnt 0x0
	v_fmac_f64_e32 v[34:35], v[2:3], v[38:39]
	v_fmac_f64_e32 v[36:37], v[4:5], v[38:39]
	s_delay_alu instid0(VALU_DEP_2) | instskip(NEXT) | instid1(VALU_DEP_2)
	v_fma_f64 v[34:35], -v[4:5], v[40:41], v[34:35]
	v_fmac_f64_e32 v[36:37], v[2:3], v[40:41]
	global_store_b128 v[16:17], v[34:37], off
.LBB30_47:                              ;   in Loop: Header=BB30_41 Depth=1
	s_wait_xcnt 0x0
	s_and_not1_saveexec_b32 s13, s13
	s_cbranch_execz .LBB30_49
; %bb.48:                               ;   in Loop: Header=BB30_41 Depth=1
	ds_load_b128 v[34:37], v13 offset:4080
	s_wait_dscnt 0x0
	v_add_f64_e32 v[6:7], v[6:7], v[34:35]
	v_add_f64_e32 v[8:9], v[8:9], v[36:37]
.LBB30_49:                              ;   in Loop: Header=BB30_41 Depth=1
	s_or_b32 exec_lo, exec_lo, s13
.LBB30_50:                              ;   in Loop: Header=BB30_41 Depth=1
	s_delay_alu instid0(SALU_CYCLE_1)
	s_or_b32 exec_lo, exec_lo, s12
	s_wait_storecnt 0x0
	s_barrier_signal -1
	s_barrier_wait -1
	ds_store_b64 v1, v[10:11]
	ds_store_b128 v12, v[6:9]
	s_wait_dscnt 0x0
	s_barrier_signal -1
	s_barrier_wait -1
	s_and_saveexec_b32 s12, s3
	s_cbranch_execz .LBB30_54
; %bb.51:                               ;   in Loop: Header=BB30_41 Depth=1
	ds_load_b64 v[16:17], v18
	s_mov_b32 s13, exec_lo
	s_wait_dscnt 0x0
	v_cmpx_eq_u64_e64 v[10:11], v[16:17]
	s_cbranch_execz .LBB30_53
; %bb.52:                               ;   in Loop: Header=BB30_41 Depth=1
	ds_load_b128 v[34:37], v26
	s_wait_dscnt 0x0
	v_add_f64_e32 v[6:7], v[6:7], v[34:35]
	v_add_f64_e32 v[8:9], v[8:9], v[36:37]
.LBB30_53:                              ;   in Loop: Header=BB30_41 Depth=1
	s_or_b32 exec_lo, exec_lo, s13
.LBB30_54:                              ;   in Loop: Header=BB30_41 Depth=1
	s_delay_alu instid0(SALU_CYCLE_1)
	s_or_b32 exec_lo, exec_lo, s12
	s_barrier_signal -1
	s_barrier_wait -1
	ds_store_b128 v12, v[6:9]
	s_wait_dscnt 0x0
	s_barrier_signal -1
	s_barrier_wait -1
	s_and_saveexec_b32 s12, s4
	s_cbranch_execz .LBB30_58
; %bb.55:                               ;   in Loop: Header=BB30_41 Depth=1
	ds_load_b64 v[16:17], v19
	s_mov_b32 s13, exec_lo
	s_wait_dscnt 0x0
	v_cmpx_eq_u64_e64 v[10:11], v[16:17]
	s_cbranch_execz .LBB30_57
; %bb.56:                               ;   in Loop: Header=BB30_41 Depth=1
	ds_load_b128 v[34:37], v27
	s_wait_dscnt 0x0
	v_add_f64_e32 v[6:7], v[6:7], v[34:35]
	v_add_f64_e32 v[8:9], v[8:9], v[36:37]
.LBB30_57:                              ;   in Loop: Header=BB30_41 Depth=1
	s_or_b32 exec_lo, exec_lo, s13
.LBB30_58:                              ;   in Loop: Header=BB30_41 Depth=1
	s_delay_alu instid0(SALU_CYCLE_1)
	s_or_b32 exec_lo, exec_lo, s12
	s_barrier_signal -1
	s_barrier_wait -1
	;; [unrolled: 24-line block ×8, first 2 shown]
	ds_store_b128 v12, v[6:9]
	s_wait_dscnt 0x0
	s_barrier_signal -1
	s_barrier_wait -1
	s_and_saveexec_b32 s13, s11
	s_cbranch_execz .LBB30_40
; %bb.83:                               ;   in Loop: Header=BB30_41 Depth=1
	ds_load_b64 v[16:17], v1 offset:8
	v_cmp_lt_i64_e64 s12, -1, v[10:11]
	s_wait_dscnt 0x0
	v_cmp_ne_u64_e32 vcc_lo, v[10:11], v[16:17]
	s_and_b32 s12, s12, vcc_lo
	s_delay_alu instid0(SALU_CYCLE_1)
	s_and_b32 exec_lo, exec_lo, s12
	s_cbranch_execz .LBB30_40
; %bb.84:                               ;   in Loop: Header=BB30_41 Depth=1
	s_wait_kmcnt 0x0
	v_lshl_add_u64 v[16:17], v[10:11], 4, s[26:27]
	global_load_b128 v[34:37], v[16:17], off
	s_wait_loadcnt 0x0
	v_fmac_f64_e32 v[34:35], v[2:3], v[6:7]
	v_fmac_f64_e32 v[36:37], v[4:5], v[6:7]
	s_delay_alu instid0(VALU_DEP_2) | instskip(NEXT) | instid1(VALU_DEP_2)
	v_fma_f64 v[34:35], -v[4:5], v[8:9], v[34:35]
	v_fmac_f64_e32 v[36:37], v[2:3], v[8:9]
	global_store_b128 v[16:17], v[34:37], off
	s_branch .LBB30_40
.LBB30_85:
	s_load_b128 s[4:7], s[0:1], 0x40
	v_cmp_eq_u32_e32 vcc_lo, 0xff, v0
	s_and_b32 exec_lo, exec_lo, vcc_lo
	s_cbranch_execz .LBB30_87
; %bb.86:
	v_dual_mul_f64 v[12:13], v[8:9], -v[4:5] :: v_dual_mov_b32 v0, 0
	v_mul_f64_e32 v[14:15], v[2:3], v[8:9]
	s_wait_xcnt 0x0
	s_lshl_b64 s[0:1], s[24:25], 3
	s_lshl_b64 s[2:3], s[24:25], 4
	s_wait_kmcnt 0x0
	s_add_nc_u64 s[0:1], s[4:5], s[0:1]
	s_add_nc_u64 s[2:3], s[6:7], s[2:3]
	s_delay_alu instid0(VALU_DEP_2) | instskip(NEXT) | instid1(VALU_DEP_2)
	v_fmac_f64_e32 v[12:13], v[2:3], v[6:7]
	v_fmac_f64_e32 v[14:15], v[4:5], v[6:7]
	s_clause 0x1
	global_store_b64 v0, v[10:11], s[0:1] th:TH_STORE_NT
	global_store_b128 v0, v[12:15], s[2:3] th:TH_STORE_NT
.LBB30_87:
	s_endpgm
	.section	.rodata,"a",@progbits
	.p2align	6, 0x0
	.amdhsa_kernel _ZN9rocsparseL26coomvn_aos_segmented_loopsILj256El21rocsparse_complex_numIdES2_S2_S2_EEvlT0_NS_24const_host_device_scalarIT4_EEPKS3_PKT1_PKT2_PT3_PS3_PS5_21rocsparse_index_base_b
		.amdhsa_group_segment_fixed_size 6144
		.amdhsa_private_segment_fixed_size 0
		.amdhsa_kernarg_size 88
		.amdhsa_user_sgpr_count 2
		.amdhsa_user_sgpr_dispatch_ptr 0
		.amdhsa_user_sgpr_queue_ptr 0
		.amdhsa_user_sgpr_kernarg_segment_ptr 1
		.amdhsa_user_sgpr_dispatch_id 0
		.amdhsa_user_sgpr_kernarg_preload_length 0
		.amdhsa_user_sgpr_kernarg_preload_offset 0
		.amdhsa_user_sgpr_private_segment_size 0
		.amdhsa_wavefront_size32 1
		.amdhsa_uses_dynamic_stack 0
		.amdhsa_enable_private_segment 0
		.amdhsa_system_sgpr_workgroup_id_x 1
		.amdhsa_system_sgpr_workgroup_id_y 0
		.amdhsa_system_sgpr_workgroup_id_z 0
		.amdhsa_system_sgpr_workgroup_info 0
		.amdhsa_system_vgpr_workitem_id 0
		.amdhsa_next_free_vgpr 44
		.amdhsa_next_free_sgpr 32
		.amdhsa_named_barrier_count 0
		.amdhsa_reserve_vcc 1
		.amdhsa_float_round_mode_32 0
		.amdhsa_float_round_mode_16_64 0
		.amdhsa_float_denorm_mode_32 3
		.amdhsa_float_denorm_mode_16_64 3
		.amdhsa_fp16_overflow 0
		.amdhsa_memory_ordered 1
		.amdhsa_forward_progress 1
		.amdhsa_inst_pref_size 24
		.amdhsa_round_robin_scheduling 0
		.amdhsa_exception_fp_ieee_invalid_op 0
		.amdhsa_exception_fp_denorm_src 0
		.amdhsa_exception_fp_ieee_div_zero 0
		.amdhsa_exception_fp_ieee_overflow 0
		.amdhsa_exception_fp_ieee_underflow 0
		.amdhsa_exception_fp_ieee_inexact 0
		.amdhsa_exception_int_div_zero 0
	.end_amdhsa_kernel
	.section	.text._ZN9rocsparseL26coomvn_aos_segmented_loopsILj256El21rocsparse_complex_numIdES2_S2_S2_EEvlT0_NS_24const_host_device_scalarIT4_EEPKS3_PKT1_PKT2_PT3_PS3_PS5_21rocsparse_index_base_b,"axG",@progbits,_ZN9rocsparseL26coomvn_aos_segmented_loopsILj256El21rocsparse_complex_numIdES2_S2_S2_EEvlT0_NS_24const_host_device_scalarIT4_EEPKS3_PKT1_PKT2_PT3_PS3_PS5_21rocsparse_index_base_b,comdat
.Lfunc_end30:
	.size	_ZN9rocsparseL26coomvn_aos_segmented_loopsILj256El21rocsparse_complex_numIdES2_S2_S2_EEvlT0_NS_24const_host_device_scalarIT4_EEPKS3_PKT1_PKT2_PT3_PS3_PS5_21rocsparse_index_base_b, .Lfunc_end30-_ZN9rocsparseL26coomvn_aos_segmented_loopsILj256El21rocsparse_complex_numIdES2_S2_S2_EEvlT0_NS_24const_host_device_scalarIT4_EEPKS3_PKT1_PKT2_PT3_PS3_PS5_21rocsparse_index_base_b
                                        ; -- End function
	.set _ZN9rocsparseL26coomvn_aos_segmented_loopsILj256El21rocsparse_complex_numIdES2_S2_S2_EEvlT0_NS_24const_host_device_scalarIT4_EEPKS3_PKT1_PKT2_PT3_PS3_PS5_21rocsparse_index_base_b.num_vgpr, 44
	.set _ZN9rocsparseL26coomvn_aos_segmented_loopsILj256El21rocsparse_complex_numIdES2_S2_S2_EEvlT0_NS_24const_host_device_scalarIT4_EEPKS3_PKT1_PKT2_PT3_PS3_PS5_21rocsparse_index_base_b.num_agpr, 0
	.set _ZN9rocsparseL26coomvn_aos_segmented_loopsILj256El21rocsparse_complex_numIdES2_S2_S2_EEvlT0_NS_24const_host_device_scalarIT4_EEPKS3_PKT1_PKT2_PT3_PS3_PS5_21rocsparse_index_base_b.numbered_sgpr, 32
	.set _ZN9rocsparseL26coomvn_aos_segmented_loopsILj256El21rocsparse_complex_numIdES2_S2_S2_EEvlT0_NS_24const_host_device_scalarIT4_EEPKS3_PKT1_PKT2_PT3_PS3_PS5_21rocsparse_index_base_b.num_named_barrier, 0
	.set _ZN9rocsparseL26coomvn_aos_segmented_loopsILj256El21rocsparse_complex_numIdES2_S2_S2_EEvlT0_NS_24const_host_device_scalarIT4_EEPKS3_PKT1_PKT2_PT3_PS3_PS5_21rocsparse_index_base_b.private_seg_size, 0
	.set _ZN9rocsparseL26coomvn_aos_segmented_loopsILj256El21rocsparse_complex_numIdES2_S2_S2_EEvlT0_NS_24const_host_device_scalarIT4_EEPKS3_PKT1_PKT2_PT3_PS3_PS5_21rocsparse_index_base_b.uses_vcc, 1
	.set _ZN9rocsparseL26coomvn_aos_segmented_loopsILj256El21rocsparse_complex_numIdES2_S2_S2_EEvlT0_NS_24const_host_device_scalarIT4_EEPKS3_PKT1_PKT2_PT3_PS3_PS5_21rocsparse_index_base_b.uses_flat_scratch, 0
	.set _ZN9rocsparseL26coomvn_aos_segmented_loopsILj256El21rocsparse_complex_numIdES2_S2_S2_EEvlT0_NS_24const_host_device_scalarIT4_EEPKS3_PKT1_PKT2_PT3_PS3_PS5_21rocsparse_index_base_b.has_dyn_sized_stack, 0
	.set _ZN9rocsparseL26coomvn_aos_segmented_loopsILj256El21rocsparse_complex_numIdES2_S2_S2_EEvlT0_NS_24const_host_device_scalarIT4_EEPKS3_PKT1_PKT2_PT3_PS3_PS5_21rocsparse_index_base_b.has_recursion, 0
	.set _ZN9rocsparseL26coomvn_aos_segmented_loopsILj256El21rocsparse_complex_numIdES2_S2_S2_EEvlT0_NS_24const_host_device_scalarIT4_EEPKS3_PKT1_PKT2_PT3_PS3_PS5_21rocsparse_index_base_b.has_indirect_call, 0
	.section	.AMDGPU.csdata,"",@progbits
; Kernel info:
; codeLenInByte = 2988
; TotalNumSgprs: 34
; NumVgprs: 44
; ScratchSize: 0
; MemoryBound: 1
; FloatMode: 240
; IeeeMode: 1
; LDSByteSize: 6144 bytes/workgroup (compile time only)
; SGPRBlocks: 0
; VGPRBlocks: 2
; NumSGPRsForWavesPerEU: 34
; NumVGPRsForWavesPerEU: 44
; NamedBarCnt: 0
; Occupancy: 16
; WaveLimiterHint : 1
; COMPUTE_PGM_RSRC2:SCRATCH_EN: 0
; COMPUTE_PGM_RSRC2:USER_SGPR: 2
; COMPUTE_PGM_RSRC2:TRAP_HANDLER: 0
; COMPUTE_PGM_RSRC2:TGID_X_EN: 1
; COMPUTE_PGM_RSRC2:TGID_Y_EN: 0
; COMPUTE_PGM_RSRC2:TGID_Z_EN: 0
; COMPUTE_PGM_RSRC2:TIDIG_COMP_CNT: 0
	.section	.text._ZN9rocsparseL29coomvn_segmented_loops_reduceILj256El21rocsparse_complex_numIdES2_EEvT0_NS_24const_host_device_scalarIT2_EEPKS3_PKS5_PT1_b,"axG",@progbits,_ZN9rocsparseL29coomvn_segmented_loops_reduceILj256El21rocsparse_complex_numIdES2_EEvT0_NS_24const_host_device_scalarIT2_EEPKS3_PKS5_PT1_b,comdat
	.globl	_ZN9rocsparseL29coomvn_segmented_loops_reduceILj256El21rocsparse_complex_numIdES2_EEvT0_NS_24const_host_device_scalarIT2_EEPKS3_PKS5_PT1_b ; -- Begin function _ZN9rocsparseL29coomvn_segmented_loops_reduceILj256El21rocsparse_complex_numIdES2_EEvT0_NS_24const_host_device_scalarIT2_EEPKS3_PKS5_PT1_b
	.p2align	8
	.type	_ZN9rocsparseL29coomvn_segmented_loops_reduceILj256El21rocsparse_complex_numIdES2_EEvT0_NS_24const_host_device_scalarIT2_EEPKS3_PKS5_PT1_b,@function
_ZN9rocsparseL29coomvn_segmented_loops_reduceILj256El21rocsparse_complex_numIdES2_EEvT0_NS_24const_host_device_scalarIT2_EEPKS3_PKS5_PT1_b: ; @_ZN9rocsparseL29coomvn_segmented_loops_reduceILj256El21rocsparse_complex_numIdES2_EEvT0_NS_24const_host_device_scalarIT2_EEPKS3_PKS5_PT1_b
; %bb.0:
	s_clause 0x1
	s_load_b32 s8, s[0:1], 0x30
	s_load_b128 s[4:7], s[0:1], 0x0
	v_mov_b32_e32 v1, 0
	s_or_b64 s[2:3], s[0:1], 8
	s_wait_kmcnt 0x0
	s_bitcmp1_b32 s8, 0
	s_cselect_b32 s3, s3, s7
	s_cselect_b32 s2, s2, s6
	flat_load_b128 v[2:5], v1, s[2:3]
	s_wait_loadcnt_dscnt 0x0
	v_cmp_neq_f64_e32 vcc_lo, 0, v[2:3]
	v_cmp_neq_f64_e64 s2, 0, v[4:5]
	s_or_b32 s2, vcc_lo, s2
	s_delay_alu instid0(SALU_CYCLE_1)
	s_and_saveexec_b32 s3, s2
	s_cbranch_execz .LBB31_42
; %bb.1:
	v_cmp_lt_i64_e64 s2, s[4:5], 1
	s_and_b32 vcc_lo, exec_lo, s2
	s_cbranch_vccnz .LBB31_42
; %bb.2:
	s_clause 0x1
	s_load_b128 s[8:11], s[0:1], 0x18
	s_load_b64 s[2:3], s[0:1], 0x28
	s_wait_xcnt 0x0
	v_sub_co_u32 v3, s0, v0, 1
	v_sub_co_u32 v4, s1, v0, 2
	s_xor_b32 s12, s0, -1
	v_lshl_add_u32 v19, v3, 3, 0x1000
	v_sub_co_u32 v3, s0, v0, 4
	v_dual_mov_b32 v1, 0 :: v_dual_lshlrev_b32 v2, 3, v0
	s_xor_b32 s13, s1, -1
	v_lshl_add_u32 v21, v4, 3, 0x1000
	v_sub_co_u32 v4, s1, v0, 8
	s_xor_b32 s14, s0, -1
	v_lshl_add_u32 v23, v3, 3, 0x1000
	v_sub_co_u32 v3, s0, v0, 16
	v_dual_mov_b32 v11, v1 :: v_dual_lshlrev_b32 v10, 4, v0
	v_lshl_add_u32 v25, v4, 3, 0x1000
	s_xor_b32 s16, s0, -1
	v_sub_co_u32 v4, s0, v0, 32
	s_delay_alu instid0(VALU_DEP_3) | instskip(SKIP_2) | instid1(VALU_DEP_4)
	v_add_nc_u32_e32 v20, -16, v10
	v_lshl_add_u32 v27, v3, 3, 0x1000
	v_mov_b32_e32 v3, v1
	v_lshl_add_u32 v29, v4, 3, 0x1000
	s_wait_kmcnt 0x0
	v_add_nc_u64_e32 v[4:5], s[10:11], v[10:11]
	s_xor_b32 s15, s1, -1
	v_sub_co_u32 v6, s1, v0, 64
	v_subrev_co_u32 v7, s6, 0x80, v0
	v_add_nc_u64_e32 v[14:15], s[8:9], v[2:3]
	s_delay_alu instid0(VALU_DEP_4)
	v_add_nc_u64_e32 v[12:13], 8, v[4:5]
	v_or_b32_e32 v18, 0x1000, v2
	v_subrev_nc_u32_e32 v22, 32, v10
	v_subrev_nc_u32_e32 v24, 64, v10
	v_add_nc_u32_e32 v26, 0xffffff80, v10
	v_add_nc_u32_e32 v28, 0xffffff00, v10
	s_xor_b32 s17, s0, -1
	v_add_nc_u32_e32 v11, 0xfffffe00, v10
	v_lshl_add_u32 v30, v6, 3, 0x1000
	v_add_nc_u32_e32 v31, 0xfffffc00, v10
	v_lshl_add_u32 v32, v7, 3, 0x1000
	v_add_nc_u32_e32 v33, 0xfffff800, v10
	v_cmp_gt_u32_e64 s0, 0xff, v0
	s_xor_b32 s8, s1, -1
	s_xor_b32 s9, s6, -1
	s_mov_b64 s[6:7], 0
	s_branch .LBB31_4
.LBB31_3:                               ;   in Loop: Header=BB31_4 Depth=1
	s_wait_xcnt 0x0
	s_or_b32 exec_lo, exec_lo, s1
	s_add_nc_u64 s[6:7], s[6:7], 0x100
	v_add_nc_u64_e32 v[12:13], 0x1000, v[12:13]
	v_cmp_lt_i64_e64 s1, s[6:7], s[4:5]
	v_add_nc_u64_e32 v[14:15], 0x800, v[14:15]
	s_wait_storecnt 0x0
	s_barrier_signal -1
	s_barrier_wait -1
	s_and_b32 vcc_lo, exec_lo, s1
	s_cbranch_vccz .LBB31_42
.LBB31_4:                               ; =>This Inner Loop Header: Depth=1
	v_add_nc_u64_e32 v[2:3], s[6:7], v[0:1]
	v_mov_b64_e32 v[4:5], 0
	v_mov_b64_e32 v[16:17], -1
	v_mov_b64_e32 v[8:9], 0
	v_mov_b64_e32 v[6:7], 0
	s_mov_b32 s1, exec_lo
	v_cmpx_gt_i64_e64 s[4:5], v[2:3]
	s_cbranch_execz .LBB31_6
; %bb.5:                                ;   in Loop: Header=BB31_4 Depth=1
	global_load_b64 v[16:17], v[14:15], off
	global_load_b128 v[6:9], v[12:13], off offset:-8
.LBB31_6:                               ;   in Loop: Header=BB31_4 Depth=1
	s_wait_xcnt 0x0
	s_or_b32 exec_lo, exec_lo, s1
	v_mov_b64_e32 v[2:3], 0
	s_wait_loadcnt 0x1
	ds_store_b64 v18, v[16:17]
	s_wait_loadcnt 0x0
	ds_store_b128 v10, v[6:9]
	s_wait_dscnt 0x0
	s_barrier_signal -1
	s_barrier_wait -1
	s_and_saveexec_b32 s1, s12
	s_cbranch_execz .LBB31_10
; %bb.7:                                ;   in Loop: Header=BB31_4 Depth=1
	ds_load_2addr_b64 v[4:7], v19 offset1:1
	v_mov_b64_e32 v[2:3], 0
	s_wait_dscnt 0x0
	v_cmp_eq_u64_e32 vcc_lo, v[6:7], v[4:5]
	v_mov_b64_e32 v[4:5], 0
	s_and_saveexec_b32 s10, vcc_lo
; %bb.8:                                ;   in Loop: Header=BB31_4 Depth=1
	ds_load_b128 v[2:5], v20
; %bb.9:                                ;   in Loop: Header=BB31_4 Depth=1
	s_or_b32 exec_lo, exec_lo, s10
.LBB31_10:                              ;   in Loop: Header=BB31_4 Depth=1
	s_delay_alu instid0(SALU_CYCLE_1)
	s_or_b32 exec_lo, exec_lo, s1
	s_wait_dscnt 0x0
	s_barrier_signal -1
	s_barrier_wait -1
	ds_load_b128 v[6:9], v10
	s_wait_dscnt 0x0
	v_add_f64_e32 v[34:35], v[2:3], v[6:7]
	v_add_f64_e32 v[36:37], v[4:5], v[8:9]
	v_mov_b64_e32 v[4:5], 0
	v_mov_b64_e32 v[8:9], 0
	v_mov_b64_e32 v[6:7], 0
	ds_store_b128 v10, v[34:37]
	s_wait_dscnt 0x0
	s_barrier_signal -1
	s_barrier_wait -1
	s_and_saveexec_b32 s1, s13
	s_cbranch_execz .LBB31_14
; %bb.11:                               ;   in Loop: Header=BB31_4 Depth=1
	ds_load_b64 v[2:3], v18
	ds_load_b64 v[8:9], v21
	v_mov_b64_e32 v[6:7], 0
	s_wait_dscnt 0x0
	v_cmp_eq_u64_e32 vcc_lo, v[2:3], v[8:9]
	v_mov_b64_e32 v[8:9], 0
	s_and_saveexec_b32 s10, vcc_lo
; %bb.12:                               ;   in Loop: Header=BB31_4 Depth=1
	ds_load_b128 v[6:9], v22
; %bb.13:                               ;   in Loop: Header=BB31_4 Depth=1
	s_or_b32 exec_lo, exec_lo, s10
.LBB31_14:                              ;   in Loop: Header=BB31_4 Depth=1
	s_delay_alu instid0(SALU_CYCLE_1)
	s_or_b32 exec_lo, exec_lo, s1
	s_wait_dscnt 0x0
	s_barrier_signal -1
	s_barrier_wait -1
	ds_load_b128 v[34:37], v10
	v_mov_b64_e32 v[2:3], 0
	s_wait_dscnt 0x0
	v_add_f64_e32 v[6:7], v[6:7], v[34:35]
	v_add_f64_e32 v[8:9], v[8:9], v[36:37]
	ds_store_b128 v10, v[6:9]
	s_wait_dscnt 0x0
	s_barrier_signal -1
	s_barrier_wait -1
	s_and_saveexec_b32 s1, s14
	s_cbranch_execz .LBB31_18
; %bb.15:                               ;   in Loop: Header=BB31_4 Depth=1
	ds_load_b64 v[4:5], v18
	ds_load_b64 v[6:7], v23
	v_mov_b64_e32 v[2:3], 0
	s_wait_dscnt 0x0
	v_cmp_eq_u64_e32 vcc_lo, v[4:5], v[6:7]
	v_mov_b64_e32 v[4:5], 0
	s_and_saveexec_b32 s10, vcc_lo
; %bb.16:                               ;   in Loop: Header=BB31_4 Depth=1
	ds_load_b128 v[2:5], v24
; %bb.17:                               ;   in Loop: Header=BB31_4 Depth=1
	s_or_b32 exec_lo, exec_lo, s10
.LBB31_18:                              ;   in Loop: Header=BB31_4 Depth=1
	s_delay_alu instid0(SALU_CYCLE_1)
	s_or_b32 exec_lo, exec_lo, s1
	s_wait_dscnt 0x0
	s_barrier_signal -1
	s_barrier_wait -1
	ds_load_b128 v[6:9], v10
	s_wait_dscnt 0x0
	v_add_f64_e32 v[34:35], v[2:3], v[6:7]
	v_add_f64_e32 v[36:37], v[4:5], v[8:9]
	v_mov_b64_e32 v[4:5], 0
	v_mov_b64_e32 v[8:9], 0
	v_mov_b64_e32 v[6:7], 0
	ds_store_b128 v10, v[34:37]
	s_wait_dscnt 0x0
	s_barrier_signal -1
	s_barrier_wait -1
	s_and_saveexec_b32 s1, s15
	s_cbranch_execz .LBB31_22
; %bb.19:                               ;   in Loop: Header=BB31_4 Depth=1
	ds_load_b64 v[2:3], v18
	ds_load_b64 v[8:9], v25
	v_mov_b64_e32 v[6:7], 0
	s_wait_dscnt 0x0
	v_cmp_eq_u64_e32 vcc_lo, v[2:3], v[8:9]
	v_mov_b64_e32 v[8:9], 0
	s_and_saveexec_b32 s10, vcc_lo
; %bb.20:                               ;   in Loop: Header=BB31_4 Depth=1
	ds_load_b128 v[6:9], v26
; %bb.21:                               ;   in Loop: Header=BB31_4 Depth=1
	s_or_b32 exec_lo, exec_lo, s10
.LBB31_22:                              ;   in Loop: Header=BB31_4 Depth=1
	s_delay_alu instid0(SALU_CYCLE_1)
	s_or_b32 exec_lo, exec_lo, s1
	s_wait_dscnt 0x0
	s_barrier_signal -1
	s_barrier_wait -1
	ds_load_b128 v[34:37], v10
	v_mov_b64_e32 v[2:3], 0
	s_wait_dscnt 0x0
	v_add_f64_e32 v[6:7], v[6:7], v[34:35]
	v_add_f64_e32 v[8:9], v[8:9], v[36:37]
	ds_store_b128 v10, v[6:9]
	s_wait_dscnt 0x0
	s_barrier_signal -1
	s_barrier_wait -1
	s_and_saveexec_b32 s1, s16
	s_cbranch_execz .LBB31_26
; %bb.23:                               ;   in Loop: Header=BB31_4 Depth=1
	ds_load_b64 v[4:5], v18
	ds_load_b64 v[6:7], v27
	v_mov_b64_e32 v[2:3], 0
	s_wait_dscnt 0x0
	v_cmp_eq_u64_e32 vcc_lo, v[4:5], v[6:7]
	v_mov_b64_e32 v[4:5], 0
	s_and_saveexec_b32 s10, vcc_lo
; %bb.24:                               ;   in Loop: Header=BB31_4 Depth=1
	ds_load_b128 v[2:5], v28
; %bb.25:                               ;   in Loop: Header=BB31_4 Depth=1
	s_or_b32 exec_lo, exec_lo, s10
.LBB31_26:                              ;   in Loop: Header=BB31_4 Depth=1
	;; [unrolled: 60-line block ×3, first 2 shown]
	s_delay_alu instid0(SALU_CYCLE_1)
	s_or_b32 exec_lo, exec_lo, s1
	s_wait_dscnt 0x0
	s_barrier_signal -1
	s_barrier_wait -1
	ds_load_b128 v[6:9], v10
	s_wait_dscnt 0x0
	v_add_f64_e32 v[6:7], v[2:3], v[6:7]
	v_add_f64_e32 v[8:9], v[4:5], v[8:9]
	v_mov_b64_e32 v[4:5], 0
	v_mov_b64_e32 v[2:3], 0
	ds_store_b128 v10, v[6:9]
	s_wait_dscnt 0x0
	s_barrier_signal -1
	s_barrier_wait -1
	s_and_saveexec_b32 s1, s9
	s_cbranch_execz .LBB31_38
; %bb.35:                               ;   in Loop: Header=BB31_4 Depth=1
	ds_load_b64 v[4:5], v18
	ds_load_b64 v[6:7], v32
	v_mov_b64_e32 v[2:3], 0
	s_wait_dscnt 0x0
	v_cmp_eq_u64_e32 vcc_lo, v[4:5], v[6:7]
	v_mov_b64_e32 v[4:5], 0
	s_and_saveexec_b32 s10, vcc_lo
; %bb.36:                               ;   in Loop: Header=BB31_4 Depth=1
	ds_load_b128 v[2:5], v33
; %bb.37:                               ;   in Loop: Header=BB31_4 Depth=1
	s_or_b32 exec_lo, exec_lo, s10
.LBB31_38:                              ;   in Loop: Header=BB31_4 Depth=1
	s_delay_alu instid0(SALU_CYCLE_1)
	s_or_b32 exec_lo, exec_lo, s1
	s_wait_dscnt 0x0
	s_barrier_signal -1
	s_barrier_wait -1
	ds_load_b128 v[6:9], v10
	s_wait_dscnt 0x0
	v_add_f64_e32 v[2:3], v[2:3], v[6:7]
	v_add_f64_e32 v[4:5], v[4:5], v[8:9]
	ds_store_b128 v10, v[2:5]
	s_wait_dscnt 0x0
	s_barrier_signal -1
	s_barrier_wait -1
	ds_load_b64 v[2:3], v18
	v_mov_b64_e32 v[4:5], -1
	s_and_saveexec_b32 s1, s0
; %bb.39:                               ;   in Loop: Header=BB31_4 Depth=1
	ds_load_b64 v[4:5], v18 offset:8
; %bb.40:                               ;   in Loop: Header=BB31_4 Depth=1
	s_or_b32 exec_lo, exec_lo, s1
	s_wait_dscnt 0x0
	v_cmp_ne_u64_e32 vcc_lo, v[2:3], v[4:5]
	v_cmp_lt_i64_e64 s1, -1, v[2:3]
	s_and_b32 s10, s1, vcc_lo
	s_delay_alu instid0(SALU_CYCLE_1)
	s_and_saveexec_b32 s1, s10
	s_cbranch_execz .LBB31_3
; %bb.41:                               ;   in Loop: Header=BB31_4 Depth=1
	v_lshl_add_u64 v[16:17], v[2:3], 4, s[2:3]
	ds_load_b128 v[6:9], v10
	global_load_b128 v[2:5], v[16:17], off
	s_wait_loadcnt_dscnt 0x0
	v_add_f64_e32 v[2:3], v[6:7], v[2:3]
	v_add_f64_e32 v[4:5], v[8:9], v[4:5]
	global_store_b128 v[16:17], v[2:5], off
	s_branch .LBB31_3
.LBB31_42:
	s_endpgm
	.section	.rodata,"a",@progbits
	.p2align	6, 0x0
	.amdhsa_kernel _ZN9rocsparseL29coomvn_segmented_loops_reduceILj256El21rocsparse_complex_numIdES2_EEvT0_NS_24const_host_device_scalarIT2_EEPKS3_PKS5_PT1_b
		.amdhsa_group_segment_fixed_size 6144
		.amdhsa_private_segment_fixed_size 0
		.amdhsa_kernarg_size 52
		.amdhsa_user_sgpr_count 2
		.amdhsa_user_sgpr_dispatch_ptr 0
		.amdhsa_user_sgpr_queue_ptr 0
		.amdhsa_user_sgpr_kernarg_segment_ptr 1
		.amdhsa_user_sgpr_dispatch_id 0
		.amdhsa_user_sgpr_kernarg_preload_length 0
		.amdhsa_user_sgpr_kernarg_preload_offset 0
		.amdhsa_user_sgpr_private_segment_size 0
		.amdhsa_wavefront_size32 1
		.amdhsa_uses_dynamic_stack 0
		.amdhsa_enable_private_segment 0
		.amdhsa_system_sgpr_workgroup_id_x 1
		.amdhsa_system_sgpr_workgroup_id_y 0
		.amdhsa_system_sgpr_workgroup_id_z 0
		.amdhsa_system_sgpr_workgroup_info 0
		.amdhsa_system_vgpr_workitem_id 0
		.amdhsa_next_free_vgpr 38
		.amdhsa_next_free_sgpr 18
		.amdhsa_named_barrier_count 0
		.amdhsa_reserve_vcc 1
		.amdhsa_float_round_mode_32 0
		.amdhsa_float_round_mode_16_64 0
		.amdhsa_float_denorm_mode_32 3
		.amdhsa_float_denorm_mode_16_64 3
		.amdhsa_fp16_overflow 0
		.amdhsa_memory_ordered 1
		.amdhsa_forward_progress 1
		.amdhsa_inst_pref_size 14
		.amdhsa_round_robin_scheduling 0
		.amdhsa_exception_fp_ieee_invalid_op 0
		.amdhsa_exception_fp_denorm_src 0
		.amdhsa_exception_fp_ieee_div_zero 0
		.amdhsa_exception_fp_ieee_overflow 0
		.amdhsa_exception_fp_ieee_underflow 0
		.amdhsa_exception_fp_ieee_inexact 0
		.amdhsa_exception_int_div_zero 0
	.end_amdhsa_kernel
	.section	.text._ZN9rocsparseL29coomvn_segmented_loops_reduceILj256El21rocsparse_complex_numIdES2_EEvT0_NS_24const_host_device_scalarIT2_EEPKS3_PKS5_PT1_b,"axG",@progbits,_ZN9rocsparseL29coomvn_segmented_loops_reduceILj256El21rocsparse_complex_numIdES2_EEvT0_NS_24const_host_device_scalarIT2_EEPKS3_PKS5_PT1_b,comdat
.Lfunc_end31:
	.size	_ZN9rocsparseL29coomvn_segmented_loops_reduceILj256El21rocsparse_complex_numIdES2_EEvT0_NS_24const_host_device_scalarIT2_EEPKS3_PKS5_PT1_b, .Lfunc_end31-_ZN9rocsparseL29coomvn_segmented_loops_reduceILj256El21rocsparse_complex_numIdES2_EEvT0_NS_24const_host_device_scalarIT2_EEPKS3_PKS5_PT1_b
                                        ; -- End function
	.set _ZN9rocsparseL29coomvn_segmented_loops_reduceILj256El21rocsparse_complex_numIdES2_EEvT0_NS_24const_host_device_scalarIT2_EEPKS3_PKS5_PT1_b.num_vgpr, 38
	.set _ZN9rocsparseL29coomvn_segmented_loops_reduceILj256El21rocsparse_complex_numIdES2_EEvT0_NS_24const_host_device_scalarIT2_EEPKS3_PKS5_PT1_b.num_agpr, 0
	.set _ZN9rocsparseL29coomvn_segmented_loops_reduceILj256El21rocsparse_complex_numIdES2_EEvT0_NS_24const_host_device_scalarIT2_EEPKS3_PKS5_PT1_b.numbered_sgpr, 18
	.set _ZN9rocsparseL29coomvn_segmented_loops_reduceILj256El21rocsparse_complex_numIdES2_EEvT0_NS_24const_host_device_scalarIT2_EEPKS3_PKS5_PT1_b.num_named_barrier, 0
	.set _ZN9rocsparseL29coomvn_segmented_loops_reduceILj256El21rocsparse_complex_numIdES2_EEvT0_NS_24const_host_device_scalarIT2_EEPKS3_PKS5_PT1_b.private_seg_size, 0
	.set _ZN9rocsparseL29coomvn_segmented_loops_reduceILj256El21rocsparse_complex_numIdES2_EEvT0_NS_24const_host_device_scalarIT2_EEPKS3_PKS5_PT1_b.uses_vcc, 1
	.set _ZN9rocsparseL29coomvn_segmented_loops_reduceILj256El21rocsparse_complex_numIdES2_EEvT0_NS_24const_host_device_scalarIT2_EEPKS3_PKS5_PT1_b.uses_flat_scratch, 0
	.set _ZN9rocsparseL29coomvn_segmented_loops_reduceILj256El21rocsparse_complex_numIdES2_EEvT0_NS_24const_host_device_scalarIT2_EEPKS3_PKS5_PT1_b.has_dyn_sized_stack, 0
	.set _ZN9rocsparseL29coomvn_segmented_loops_reduceILj256El21rocsparse_complex_numIdES2_EEvT0_NS_24const_host_device_scalarIT2_EEPKS3_PKS5_PT1_b.has_recursion, 0
	.set _ZN9rocsparseL29coomvn_segmented_loops_reduceILj256El21rocsparse_complex_numIdES2_EEvT0_NS_24const_host_device_scalarIT2_EEPKS3_PKS5_PT1_b.has_indirect_call, 0
	.section	.AMDGPU.csdata,"",@progbits
; Kernel info:
; codeLenInByte = 1712
; TotalNumSgprs: 20
; NumVgprs: 38
; ScratchSize: 0
; MemoryBound: 1
; FloatMode: 240
; IeeeMode: 1
; LDSByteSize: 6144 bytes/workgroup (compile time only)
; SGPRBlocks: 0
; VGPRBlocks: 2
; NumSGPRsForWavesPerEU: 20
; NumVGPRsForWavesPerEU: 38
; NamedBarCnt: 0
; Occupancy: 16
; WaveLimiterHint : 0
; COMPUTE_PGM_RSRC2:SCRATCH_EN: 0
; COMPUTE_PGM_RSRC2:USER_SGPR: 2
; COMPUTE_PGM_RSRC2:TRAP_HANDLER: 0
; COMPUTE_PGM_RSRC2:TGID_X_EN: 1
; COMPUTE_PGM_RSRC2:TGID_Y_EN: 0
; COMPUTE_PGM_RSRC2:TGID_Z_EN: 0
; COMPUTE_PGM_RSRC2:TIDIG_COMP_CNT: 0
	.section	.text._ZN9rocsparseL23coomvn_aos_atomic_loopsILj256ELj1EiaaiiEEvlNS_24const_host_device_scalarIT5_EEPKT1_PKT2_PKT3_PT4_21rocsparse_index_base_b,"axG",@progbits,_ZN9rocsparseL23coomvn_aos_atomic_loopsILj256ELj1EiaaiiEEvlNS_24const_host_device_scalarIT5_EEPKT1_PKT2_PKT3_PT4_21rocsparse_index_base_b,comdat
	.globl	_ZN9rocsparseL23coomvn_aos_atomic_loopsILj256ELj1EiaaiiEEvlNS_24const_host_device_scalarIT5_EEPKT1_PKT2_PKT3_PT4_21rocsparse_index_base_b ; -- Begin function _ZN9rocsparseL23coomvn_aos_atomic_loopsILj256ELj1EiaaiiEEvlNS_24const_host_device_scalarIT5_EEPKT1_PKT2_PKT3_PT4_21rocsparse_index_base_b
	.p2align	8
	.type	_ZN9rocsparseL23coomvn_aos_atomic_loopsILj256ELj1EiaaiiEEvlNS_24const_host_device_scalarIT5_EEPKT1_PKT2_PKT3_PT4_21rocsparse_index_base_b,@function
_ZN9rocsparseL23coomvn_aos_atomic_loopsILj256ELj1EiaaiiEEvlNS_24const_host_device_scalarIT5_EEPKT1_PKT2_PKT3_PT4_21rocsparse_index_base_b: ; @_ZN9rocsparseL23coomvn_aos_atomic_loopsILj256ELj1EiaaiiEEvlNS_24const_host_device_scalarIT5_EEPKT1_PKT2_PKT3_PT4_21rocsparse_index_base_b
; %bb.0:
	s_clause 0x1
	s_load_b64 s[2:3], s[0:1], 0x30
	s_load_b128 s[4:7], s[0:1], 0x0
	s_wait_kmcnt 0x0
	s_bitcmp0_b32 s3, 0
	s_mov_b32 s3, 0
	s_cbranch_scc0 .LBB32_2
; %bb.1:
	s_load_b32 s7, s[6:7], 0x0
	s_and_not1_b32 vcc_lo, exec_lo, s3
	s_cbranch_vccz .LBB32_3
	s_branch .LBB32_4
.LBB32_2:
                                        ; implicit-def: $sgpr7
.LBB32_3:
	s_wait_kmcnt 0x0
	s_mov_b32 s7, s6
.LBB32_4:
	s_wait_kmcnt 0x0
	s_cmp_eq_u32 s7, 0
	s_cbranch_scc1 .LBB32_44
; %bb.5:
	s_bfe_u32 s3, ttmp6, 0x4000c
	s_and_b32 s6, ttmp6, 15
	s_add_co_i32 s3, s3, 1
	s_getreg_b32 s8, hwreg(HW_REG_IB_STS2, 6, 4)
	s_mul_i32 s3, ttmp9, s3
	v_dual_mov_b32 v3, 0 :: v_dual_mov_b32 v1, -1
	s_add_co_i32 s6, s6, s3
	s_cmp_eq_u32 s8, 0
	s_cselect_b32 s3, ttmp9, s6
	s_delay_alu instid0(SALU_CYCLE_1) | instskip(SKIP_1) | instid1(VALU_DEP_1)
	v_lshl_or_b32 v2, s3, 8, v0
	s_mov_b32 s3, exec_lo
	v_cmpx_gt_i64_e64 s[4:5], v[2:3]
	s_cbranch_execz .LBB32_7
; %bb.6:
	s_clause 0x1
	s_load_b128 s[8:11], s[0:1], 0x10
	s_load_b64 s[4:5], s[0:1], 0x20
	s_wait_kmcnt 0x0
	v_lshl_add_u64 v[4:5], v[2:3], 3, s[8:9]
	v_add_nc_u64_e32 v[2:3], s[10:11], v[2:3]
	global_load_b64 v[4:5], v[4:5], off th:TH_LOAD_NT
	s_wait_loadcnt 0x0
	v_subrev_nc_u32_e32 v1, s2, v5
	global_load_i8 v5, v[2:3], off th:TH_LOAD_NT
	global_load_i8 v6, v1, s[4:5]
	s_wait_xcnt 0x0
	v_subrev_nc_u32_e32 v1, s2, v4
	s_wait_loadcnt 0x0
	v_mul_i32_i24_e32 v3, v6, v5
.LBB32_7:
	s_or_b32 exec_lo, exec_lo, s3
	v_lshlrev_b32_e32 v2, 2, v0
	s_mov_b32 s2, exec_lo
	s_delay_alu instid0(VALU_DEP_1)
	v_or_b32_e32 v4, 0x400, v2
	ds_store_2addr_stride64_b32 v2, v1, v3 offset1:4
	s_wait_dscnt 0x0
	s_barrier_signal -1
	s_barrier_wait -1
	v_cmpx_ne_u32_e32 0, v0
	s_cbranch_execz .LBB32_11
; %bb.8:
	v_add_nc_u32_e32 v5, -4, v2
	s_mov_b32 s3, exec_lo
	ds_load_b32 v5, v5
	s_wait_dscnt 0x0
	v_cmpx_eq_u32_e64 v1, v5
	s_cbranch_execz .LBB32_10
; %bb.9:
	v_add_nc_u32_e32 v5, -4, v4
	ds_load_b32 v5, v5
	s_wait_dscnt 0x0
	v_add_nc_u32_e32 v3, v5, v3
.LBB32_10:
	s_or_b32 exec_lo, exec_lo, s3
.LBB32_11:
	s_delay_alu instid0(SALU_CYCLE_1) | instskip(NEXT) | instid1(SALU_CYCLE_1)
	s_or_b32 exec_lo, exec_lo, s2
	s_mov_b32 s2, exec_lo
	s_barrier_signal -1
	s_barrier_wait -1
	ds_store_b32 v4, v3
	s_wait_dscnt 0x0
	s_barrier_signal -1
	s_barrier_wait -1
	v_cmpx_lt_u32_e32 1, v0
	s_cbranch_execz .LBB32_15
; %bb.12:
	v_add_nc_u32_e32 v5, -8, v2
	s_mov_b32 s3, exec_lo
	ds_load_b32 v5, v5
	s_wait_dscnt 0x0
	v_cmpx_eq_u32_e64 v1, v5
	s_cbranch_execz .LBB32_14
; %bb.13:
	v_add_nc_u32_e32 v5, -8, v4
	ds_load_b32 v5, v5
	s_wait_dscnt 0x0
	v_add_nc_u32_e32 v3, v5, v3
.LBB32_14:
	s_or_b32 exec_lo, exec_lo, s3
.LBB32_15:
	s_delay_alu instid0(SALU_CYCLE_1) | instskip(NEXT) | instid1(SALU_CYCLE_1)
	s_or_b32 exec_lo, exec_lo, s2
	s_mov_b32 s2, exec_lo
	s_barrier_signal -1
	s_barrier_wait -1
	ds_store_b32 v4, v3
	s_wait_dscnt 0x0
	s_barrier_signal -1
	s_barrier_wait -1
	v_cmpx_lt_u32_e32 3, v0
	;; [unrolled: 26-line block ×3, first 2 shown]
	s_cbranch_execz .LBB32_23
; %bb.20:
	v_subrev_nc_u32_e32 v5, 32, v2
	s_mov_b32 s3, exec_lo
	ds_load_b32 v5, v5
	s_wait_dscnt 0x0
	v_cmpx_eq_u32_e64 v1, v5
	s_cbranch_execz .LBB32_22
; %bb.21:
	v_subrev_nc_u32_e32 v5, 32, v4
	ds_load_b32 v5, v5
	s_wait_dscnt 0x0
	v_add_nc_u32_e32 v3, v5, v3
.LBB32_22:
	s_or_b32 exec_lo, exec_lo, s3
.LBB32_23:
	s_delay_alu instid0(SALU_CYCLE_1) | instskip(NEXT) | instid1(SALU_CYCLE_1)
	s_or_b32 exec_lo, exec_lo, s2
	s_mov_b32 s2, exec_lo
	s_barrier_signal -1
	s_barrier_wait -1
	ds_store_b32 v4, v3
	s_wait_dscnt 0x0
	s_barrier_signal -1
	s_barrier_wait -1
	v_cmpx_lt_u32_e32 15, v0
	s_cbranch_execz .LBB32_27
; %bb.24:
	v_subrev_nc_u32_e32 v5, 64, v2
	s_mov_b32 s3, exec_lo
	ds_load_b32 v5, v5
	s_wait_dscnt 0x0
	v_cmpx_eq_u32_e64 v1, v5
	s_cbranch_execz .LBB32_26
; %bb.25:
	v_subrev_nc_u32_e32 v5, 64, v4
	ds_load_b32 v5, v5
	s_wait_dscnt 0x0
	v_add_nc_u32_e32 v3, v5, v3
.LBB32_26:
	s_or_b32 exec_lo, exec_lo, s3
.LBB32_27:
	s_delay_alu instid0(SALU_CYCLE_1) | instskip(NEXT) | instid1(SALU_CYCLE_1)
	s_or_b32 exec_lo, exec_lo, s2
	s_mov_b32 s2, exec_lo
	s_barrier_signal -1
	s_barrier_wait -1
	ds_store_b32 v4, v3
	s_wait_dscnt 0x0
	s_barrier_signal -1
	s_barrier_wait -1
	v_cmpx_lt_u32_e32 31, v0
	s_cbranch_execz .LBB32_31
; %bb.28:
	v_add_nc_u32_e32 v5, 0xffffff80, v2
	s_mov_b32 s3, exec_lo
	ds_load_b32 v5, v5
	s_wait_dscnt 0x0
	v_cmpx_eq_u32_e64 v1, v5
	s_cbranch_execz .LBB32_30
; %bb.29:
	v_add_nc_u32_e32 v5, 0xffffff80, v4
	ds_load_b32 v5, v5
	s_wait_dscnt 0x0
	v_add_nc_u32_e32 v3, v5, v3
.LBB32_30:
	s_or_b32 exec_lo, exec_lo, s3
.LBB32_31:
	s_delay_alu instid0(SALU_CYCLE_1) | instskip(NEXT) | instid1(SALU_CYCLE_1)
	s_or_b32 exec_lo, exec_lo, s2
	s_mov_b32 s2, exec_lo
	s_barrier_signal -1
	s_barrier_wait -1
	ds_store_b32 v4, v3
	s_wait_dscnt 0x0
	s_barrier_signal -1
	s_barrier_wait -1
	v_cmpx_lt_u32_e32 63, v0
	s_cbranch_execz .LBB32_35
; %bb.32:
	v_add_nc_u32_e32 v5, 0xffffff00, v2
	s_mov_b32 s3, exec_lo
	ds_load_b32 v5, v5
	s_wait_dscnt 0x0
	v_cmpx_eq_u32_e64 v1, v5
	s_cbranch_execz .LBB32_34
; %bb.33:
	v_add_nc_u32_e32 v5, 0xffffff00, v4
	ds_load_b32 v5, v5
	s_wait_dscnt 0x0
	v_add_nc_u32_e32 v3, v5, v3
.LBB32_34:
	s_or_b32 exec_lo, exec_lo, s3
.LBB32_35:
	s_delay_alu instid0(SALU_CYCLE_1)
	s_or_b32 exec_lo, exec_lo, s2
	s_load_b64 s[2:3], s[0:1], 0x28
	s_wait_xcnt 0x0
	s_mov_b32 s0, exec_lo
	s_barrier_signal -1
	s_barrier_wait -1
	ds_store_b32 v4, v3
	s_wait_dscnt 0x0
	s_barrier_signal -1
	s_barrier_wait -1
	v_cmpx_lt_u32_e32 0x7f, v0
	s_cbranch_execz .LBB32_39
; %bb.36:
	v_add_nc_u32_e32 v5, 0xfffffe00, v2
	s_mov_b32 s1, exec_lo
	ds_load_b32 v5, v5
	s_wait_dscnt 0x0
	v_cmpx_eq_u32_e64 v1, v5
	s_cbranch_execz .LBB32_38
; %bb.37:
	v_add_nc_u32_e32 v5, 0xfffffe00, v4
	ds_load_b32 v5, v5
	s_wait_dscnt 0x0
	v_add_nc_u32_e32 v3, v5, v3
.LBB32_38:
	s_or_b32 exec_lo, exec_lo, s1
.LBB32_39:
	s_delay_alu instid0(SALU_CYCLE_1) | instskip(NEXT) | instid1(SALU_CYCLE_1)
	s_or_b32 exec_lo, exec_lo, s0
	s_mov_b32 s1, exec_lo
	s_barrier_signal -1
	s_barrier_wait -1
	ds_store_b32 v4, v3
	s_wait_dscnt 0x0
	s_barrier_signal -1
	s_barrier_wait -1
	v_cmpx_gt_u32_e32 0xff, v0
	s_cbranch_execz .LBB32_42
; %bb.40:
	ds_load_b32 v2, v2 offset:4
	v_cmp_lt_i32_e64 s0, -1, v1
	s_wait_dscnt 0x0
	v_cmp_ne_u32_e32 vcc_lo, v1, v2
	s_and_b32 s0, s0, vcc_lo
	s_delay_alu instid0(SALU_CYCLE_1)
	s_and_b32 exec_lo, exec_lo, s0
	s_cbranch_execz .LBB32_42
; %bb.41:
	v_mul_lo_u32 v2, v3, s7
	s_wait_kmcnt 0x0
	global_atomic_add_u32 v1, v2, s[2:3] scale_offset scope:SCOPE_DEV
.LBB32_42:
	s_wait_xcnt 0x0
	s_or_b32 exec_lo, exec_lo, s1
	v_cmp_eq_u32_e32 vcc_lo, 0xff, v0
	v_cmp_lt_i32_e64 s0, -1, v1
	s_and_b32 s0, vcc_lo, s0
	s_delay_alu instid0(SALU_CYCLE_1)
	s_and_saveexec_b32 s1, s0
	s_cbranch_execz .LBB32_44
; %bb.43:
	v_mul_lo_u32 v0, v3, s7
	s_wait_kmcnt 0x0
	global_atomic_add_u32 v1, v0, s[2:3] scale_offset scope:SCOPE_DEV
.LBB32_44:
	s_endpgm
	.section	.rodata,"a",@progbits
	.p2align	6, 0x0
	.amdhsa_kernel _ZN9rocsparseL23coomvn_aos_atomic_loopsILj256ELj1EiaaiiEEvlNS_24const_host_device_scalarIT5_EEPKT1_PKT2_PKT3_PT4_21rocsparse_index_base_b
		.amdhsa_group_segment_fixed_size 2048
		.amdhsa_private_segment_fixed_size 0
		.amdhsa_kernarg_size 56
		.amdhsa_user_sgpr_count 2
		.amdhsa_user_sgpr_dispatch_ptr 0
		.amdhsa_user_sgpr_queue_ptr 0
		.amdhsa_user_sgpr_kernarg_segment_ptr 1
		.amdhsa_user_sgpr_dispatch_id 0
		.amdhsa_user_sgpr_kernarg_preload_length 0
		.amdhsa_user_sgpr_kernarg_preload_offset 0
		.amdhsa_user_sgpr_private_segment_size 0
		.amdhsa_wavefront_size32 1
		.amdhsa_uses_dynamic_stack 0
		.amdhsa_enable_private_segment 0
		.amdhsa_system_sgpr_workgroup_id_x 1
		.amdhsa_system_sgpr_workgroup_id_y 0
		.amdhsa_system_sgpr_workgroup_id_z 0
		.amdhsa_system_sgpr_workgroup_info 0
		.amdhsa_system_vgpr_workitem_id 0
		.amdhsa_next_free_vgpr 7
		.amdhsa_next_free_sgpr 12
		.amdhsa_named_barrier_count 0
		.amdhsa_reserve_vcc 1
		.amdhsa_float_round_mode_32 0
		.amdhsa_float_round_mode_16_64 0
		.amdhsa_float_denorm_mode_32 3
		.amdhsa_float_denorm_mode_16_64 3
		.amdhsa_fp16_overflow 0
		.amdhsa_memory_ordered 1
		.amdhsa_forward_progress 1
		.amdhsa_inst_pref_size 11
		.amdhsa_round_robin_scheduling 0
		.amdhsa_exception_fp_ieee_invalid_op 0
		.amdhsa_exception_fp_denorm_src 0
		.amdhsa_exception_fp_ieee_div_zero 0
		.amdhsa_exception_fp_ieee_overflow 0
		.amdhsa_exception_fp_ieee_underflow 0
		.amdhsa_exception_fp_ieee_inexact 0
		.amdhsa_exception_int_div_zero 0
	.end_amdhsa_kernel
	.section	.text._ZN9rocsparseL23coomvn_aos_atomic_loopsILj256ELj1EiaaiiEEvlNS_24const_host_device_scalarIT5_EEPKT1_PKT2_PKT3_PT4_21rocsparse_index_base_b,"axG",@progbits,_ZN9rocsparseL23coomvn_aos_atomic_loopsILj256ELj1EiaaiiEEvlNS_24const_host_device_scalarIT5_EEPKT1_PKT2_PKT3_PT4_21rocsparse_index_base_b,comdat
.Lfunc_end32:
	.size	_ZN9rocsparseL23coomvn_aos_atomic_loopsILj256ELj1EiaaiiEEvlNS_24const_host_device_scalarIT5_EEPKT1_PKT2_PKT3_PT4_21rocsparse_index_base_b, .Lfunc_end32-_ZN9rocsparseL23coomvn_aos_atomic_loopsILj256ELj1EiaaiiEEvlNS_24const_host_device_scalarIT5_EEPKT1_PKT2_PKT3_PT4_21rocsparse_index_base_b
                                        ; -- End function
	.set _ZN9rocsparseL23coomvn_aos_atomic_loopsILj256ELj1EiaaiiEEvlNS_24const_host_device_scalarIT5_EEPKT1_PKT2_PKT3_PT4_21rocsparse_index_base_b.num_vgpr, 7
	.set _ZN9rocsparseL23coomvn_aos_atomic_loopsILj256ELj1EiaaiiEEvlNS_24const_host_device_scalarIT5_EEPKT1_PKT2_PKT3_PT4_21rocsparse_index_base_b.num_agpr, 0
	.set _ZN9rocsparseL23coomvn_aos_atomic_loopsILj256ELj1EiaaiiEEvlNS_24const_host_device_scalarIT5_EEPKT1_PKT2_PKT3_PT4_21rocsparse_index_base_b.numbered_sgpr, 12
	.set _ZN9rocsparseL23coomvn_aos_atomic_loopsILj256ELj1EiaaiiEEvlNS_24const_host_device_scalarIT5_EEPKT1_PKT2_PKT3_PT4_21rocsparse_index_base_b.num_named_barrier, 0
	.set _ZN9rocsparseL23coomvn_aos_atomic_loopsILj256ELj1EiaaiiEEvlNS_24const_host_device_scalarIT5_EEPKT1_PKT2_PKT3_PT4_21rocsparse_index_base_b.private_seg_size, 0
	.set _ZN9rocsparseL23coomvn_aos_atomic_loopsILj256ELj1EiaaiiEEvlNS_24const_host_device_scalarIT5_EEPKT1_PKT2_PKT3_PT4_21rocsparse_index_base_b.uses_vcc, 1
	.set _ZN9rocsparseL23coomvn_aos_atomic_loopsILj256ELj1EiaaiiEEvlNS_24const_host_device_scalarIT5_EEPKT1_PKT2_PKT3_PT4_21rocsparse_index_base_b.uses_flat_scratch, 0
	.set _ZN9rocsparseL23coomvn_aos_atomic_loopsILj256ELj1EiaaiiEEvlNS_24const_host_device_scalarIT5_EEPKT1_PKT2_PKT3_PT4_21rocsparse_index_base_b.has_dyn_sized_stack, 0
	.set _ZN9rocsparseL23coomvn_aos_atomic_loopsILj256ELj1EiaaiiEEvlNS_24const_host_device_scalarIT5_EEPKT1_PKT2_PKT3_PT4_21rocsparse_index_base_b.has_recursion, 0
	.set _ZN9rocsparseL23coomvn_aos_atomic_loopsILj256ELj1EiaaiiEEvlNS_24const_host_device_scalarIT5_EEPKT1_PKT2_PKT3_PT4_21rocsparse_index_base_b.has_indirect_call, 0
	.section	.AMDGPU.csdata,"",@progbits
; Kernel info:
; codeLenInByte = 1308
; TotalNumSgprs: 14
; NumVgprs: 7
; ScratchSize: 0
; MemoryBound: 0
; FloatMode: 240
; IeeeMode: 1
; LDSByteSize: 2048 bytes/workgroup (compile time only)
; SGPRBlocks: 0
; VGPRBlocks: 0
; NumSGPRsForWavesPerEU: 14
; NumVGPRsForWavesPerEU: 7
; NamedBarCnt: 0
; Occupancy: 16
; WaveLimiterHint : 1
; COMPUTE_PGM_RSRC2:SCRATCH_EN: 0
; COMPUTE_PGM_RSRC2:USER_SGPR: 2
; COMPUTE_PGM_RSRC2:TRAP_HANDLER: 0
; COMPUTE_PGM_RSRC2:TGID_X_EN: 1
; COMPUTE_PGM_RSRC2:TGID_Y_EN: 0
; COMPUTE_PGM_RSRC2:TGID_Z_EN: 0
; COMPUTE_PGM_RSRC2:TIDIG_COMP_CNT: 0
	.section	.text._ZN9rocsparseL17coomvt_aos_kernelILj1024EiaaiiEEv20rocsparse_operation_lNS_24const_host_device_scalarIT4_EEPKT0_PKT1_PKT2_PT3_21rocsparse_index_base_b,"axG",@progbits,_ZN9rocsparseL17coomvt_aos_kernelILj1024EiaaiiEEv20rocsparse_operation_lNS_24const_host_device_scalarIT4_EEPKT0_PKT1_PKT2_PT3_21rocsparse_index_base_b,comdat
	.globl	_ZN9rocsparseL17coomvt_aos_kernelILj1024EiaaiiEEv20rocsparse_operation_lNS_24const_host_device_scalarIT4_EEPKT0_PKT1_PKT2_PT3_21rocsparse_index_base_b ; -- Begin function _ZN9rocsparseL17coomvt_aos_kernelILj1024EiaaiiEEv20rocsparse_operation_lNS_24const_host_device_scalarIT4_EEPKT0_PKT1_PKT2_PT3_21rocsparse_index_base_b
	.p2align	8
	.type	_ZN9rocsparseL17coomvt_aos_kernelILj1024EiaaiiEEv20rocsparse_operation_lNS_24const_host_device_scalarIT4_EEPKT0_PKT1_PKT2_PT3_21rocsparse_index_base_b,@function
_ZN9rocsparseL17coomvt_aos_kernelILj1024EiaaiiEEv20rocsparse_operation_lNS_24const_host_device_scalarIT4_EEPKT0_PKT1_PKT2_PT3_21rocsparse_index_base_b: ; @_ZN9rocsparseL17coomvt_aos_kernelILj1024EiaaiiEEv20rocsparse_operation_lNS_24const_host_device_scalarIT4_EEPKT0_PKT1_PKT2_PT3_21rocsparse_index_base_b
; %bb.0:
	s_clause 0x1
	s_load_b64 s[2:3], s[0:1], 0x38
	s_load_b128 s[4:7], s[0:1], 0x8
	s_mov_b32 s8, 0
	s_wait_kmcnt 0x0
	s_bitcmp0_b32 s3, 0
	s_cbranch_scc0 .LBB33_2
; %bb.1:
	s_load_b32 s3, s[6:7], 0x0
	s_and_not1_b32 vcc_lo, exec_lo, s8
	s_cbranch_vccz .LBB33_3
	s_branch .LBB33_4
.LBB33_2:
                                        ; implicit-def: $sgpr3
.LBB33_3:
	s_wait_kmcnt 0x0
	s_mov_b32 s3, s6
.LBB33_4:
	s_wait_kmcnt 0x0
	s_cmp_eq_u32 s3, 0
	s_cbranch_scc1 .LBB33_7
; %bb.5:
	s_load_b32 s6, s[0:1], 0x4c
	s_bfe_u32 s7, ttmp6, 0x4000c
	s_and_b32 s8, ttmp6, 15
	s_add_co_i32 s7, s7, 1
	s_getreg_b32 s9, hwreg(HW_REG_IB_STS2, 6, 4)
	s_mul_i32 s7, ttmp9, s7
	v_mov_b32_e32 v1, 0
	s_add_co_i32 s8, s8, s7
	s_wait_kmcnt 0x0
	s_and_b32 s6, s6, 0xffff
	s_cmp_eq_u32 s9, 0
	s_cselect_b32 s7, ttmp9, s8
	s_delay_alu instid0(SALU_CYCLE_1) | instskip(NEXT) | instid1(VALU_DEP_1)
	v_mad_u32 v0, s7, s6, v0
	v_cmp_gt_i64_e32 vcc_lo, s[4:5], v[0:1]
	s_and_saveexec_b32 s4, vcc_lo
	s_cbranch_execz .LBB33_7
; %bb.6:
	s_load_b256 s[4:11], s[0:1], 0x18
	s_wait_kmcnt 0x0
	v_lshl_add_u64 v[2:3], v[0:1], 3, s[4:5]
	v_add_nc_u64_e32 v[0:1], s[6:7], v[0:1]
	global_load_b64 v[2:3], v[2:3], off
	global_load_i8 v0, v[0:1], off
	s_wait_loadcnt 0x1
	s_wait_xcnt 0x0
	v_subrev_nc_u32_e32 v1, s2, v2
	s_wait_loadcnt 0x0
	v_mul_lo_u32 v0, s3, v0
	global_load_i8 v1, v1, s[8:9]
	s_wait_loadcnt 0x0
	v_mul_lo_u32 v0, v0, v1
	v_subrev_nc_u32_e32 v1, s2, v3
	global_atomic_add_u32 v1, v0, s[10:11] scale_offset scope:SCOPE_DEV
.LBB33_7:
	s_endpgm
	.section	.rodata,"a",@progbits
	.p2align	6, 0x0
	.amdhsa_kernel _ZN9rocsparseL17coomvt_aos_kernelILj1024EiaaiiEEv20rocsparse_operation_lNS_24const_host_device_scalarIT4_EEPKT0_PKT1_PKT2_PT3_21rocsparse_index_base_b
		.amdhsa_group_segment_fixed_size 0
		.amdhsa_private_segment_fixed_size 0
		.amdhsa_kernarg_size 320
		.amdhsa_user_sgpr_count 2
		.amdhsa_user_sgpr_dispatch_ptr 0
		.amdhsa_user_sgpr_queue_ptr 0
		.amdhsa_user_sgpr_kernarg_segment_ptr 1
		.amdhsa_user_sgpr_dispatch_id 0
		.amdhsa_user_sgpr_kernarg_preload_length 0
		.amdhsa_user_sgpr_kernarg_preload_offset 0
		.amdhsa_user_sgpr_private_segment_size 0
		.amdhsa_wavefront_size32 1
		.amdhsa_uses_dynamic_stack 0
		.amdhsa_enable_private_segment 0
		.amdhsa_system_sgpr_workgroup_id_x 1
		.amdhsa_system_sgpr_workgroup_id_y 0
		.amdhsa_system_sgpr_workgroup_id_z 0
		.amdhsa_system_sgpr_workgroup_info 0
		.amdhsa_system_vgpr_workitem_id 0
		.amdhsa_next_free_vgpr 4
		.amdhsa_next_free_sgpr 12
		.amdhsa_named_barrier_count 0
		.amdhsa_reserve_vcc 1
		.amdhsa_float_round_mode_32 0
		.amdhsa_float_round_mode_16_64 0
		.amdhsa_float_denorm_mode_32 3
		.amdhsa_float_denorm_mode_16_64 3
		.amdhsa_fp16_overflow 0
		.amdhsa_memory_ordered 1
		.amdhsa_forward_progress 1
		.amdhsa_inst_pref_size 3
		.amdhsa_round_robin_scheduling 0
		.amdhsa_exception_fp_ieee_invalid_op 0
		.amdhsa_exception_fp_denorm_src 0
		.amdhsa_exception_fp_ieee_div_zero 0
		.amdhsa_exception_fp_ieee_overflow 0
		.amdhsa_exception_fp_ieee_underflow 0
		.amdhsa_exception_fp_ieee_inexact 0
		.amdhsa_exception_int_div_zero 0
	.end_amdhsa_kernel
	.section	.text._ZN9rocsparseL17coomvt_aos_kernelILj1024EiaaiiEEv20rocsparse_operation_lNS_24const_host_device_scalarIT4_EEPKT0_PKT1_PKT2_PT3_21rocsparse_index_base_b,"axG",@progbits,_ZN9rocsparseL17coomvt_aos_kernelILj1024EiaaiiEEv20rocsparse_operation_lNS_24const_host_device_scalarIT4_EEPKT0_PKT1_PKT2_PT3_21rocsparse_index_base_b,comdat
.Lfunc_end33:
	.size	_ZN9rocsparseL17coomvt_aos_kernelILj1024EiaaiiEEv20rocsparse_operation_lNS_24const_host_device_scalarIT4_EEPKT0_PKT1_PKT2_PT3_21rocsparse_index_base_b, .Lfunc_end33-_ZN9rocsparseL17coomvt_aos_kernelILj1024EiaaiiEEv20rocsparse_operation_lNS_24const_host_device_scalarIT4_EEPKT0_PKT1_PKT2_PT3_21rocsparse_index_base_b
                                        ; -- End function
	.set _ZN9rocsparseL17coomvt_aos_kernelILj1024EiaaiiEEv20rocsparse_operation_lNS_24const_host_device_scalarIT4_EEPKT0_PKT1_PKT2_PT3_21rocsparse_index_base_b.num_vgpr, 4
	.set _ZN9rocsparseL17coomvt_aos_kernelILj1024EiaaiiEEv20rocsparse_operation_lNS_24const_host_device_scalarIT4_EEPKT0_PKT1_PKT2_PT3_21rocsparse_index_base_b.num_agpr, 0
	.set _ZN9rocsparseL17coomvt_aos_kernelILj1024EiaaiiEEv20rocsparse_operation_lNS_24const_host_device_scalarIT4_EEPKT0_PKT1_PKT2_PT3_21rocsparse_index_base_b.numbered_sgpr, 12
	.set _ZN9rocsparseL17coomvt_aos_kernelILj1024EiaaiiEEv20rocsparse_operation_lNS_24const_host_device_scalarIT4_EEPKT0_PKT1_PKT2_PT3_21rocsparse_index_base_b.num_named_barrier, 0
	.set _ZN9rocsparseL17coomvt_aos_kernelILj1024EiaaiiEEv20rocsparse_operation_lNS_24const_host_device_scalarIT4_EEPKT0_PKT1_PKT2_PT3_21rocsparse_index_base_b.private_seg_size, 0
	.set _ZN9rocsparseL17coomvt_aos_kernelILj1024EiaaiiEEv20rocsparse_operation_lNS_24const_host_device_scalarIT4_EEPKT0_PKT1_PKT2_PT3_21rocsparse_index_base_b.uses_vcc, 1
	.set _ZN9rocsparseL17coomvt_aos_kernelILj1024EiaaiiEEv20rocsparse_operation_lNS_24const_host_device_scalarIT4_EEPKT0_PKT1_PKT2_PT3_21rocsparse_index_base_b.uses_flat_scratch, 0
	.set _ZN9rocsparseL17coomvt_aos_kernelILj1024EiaaiiEEv20rocsparse_operation_lNS_24const_host_device_scalarIT4_EEPKT0_PKT1_PKT2_PT3_21rocsparse_index_base_b.has_dyn_sized_stack, 0
	.set _ZN9rocsparseL17coomvt_aos_kernelILj1024EiaaiiEEv20rocsparse_operation_lNS_24const_host_device_scalarIT4_EEPKT0_PKT1_PKT2_PT3_21rocsparse_index_base_b.has_recursion, 0
	.set _ZN9rocsparseL17coomvt_aos_kernelILj1024EiaaiiEEv20rocsparse_operation_lNS_24const_host_device_scalarIT4_EEPKT0_PKT1_PKT2_PT3_21rocsparse_index_base_b.has_indirect_call, 0
	.section	.AMDGPU.csdata,"",@progbits
; Kernel info:
; codeLenInByte = 276
; TotalNumSgprs: 14
; NumVgprs: 4
; ScratchSize: 0
; MemoryBound: 0
; FloatMode: 240
; IeeeMode: 1
; LDSByteSize: 0 bytes/workgroup (compile time only)
; SGPRBlocks: 0
; VGPRBlocks: 0
; NumSGPRsForWavesPerEU: 14
; NumVGPRsForWavesPerEU: 4
; NamedBarCnt: 0
; Occupancy: 16
; WaveLimiterHint : 1
; COMPUTE_PGM_RSRC2:SCRATCH_EN: 0
; COMPUTE_PGM_RSRC2:USER_SGPR: 2
; COMPUTE_PGM_RSRC2:TRAP_HANDLER: 0
; COMPUTE_PGM_RSRC2:TGID_X_EN: 1
; COMPUTE_PGM_RSRC2:TGID_Y_EN: 0
; COMPUTE_PGM_RSRC2:TGID_Z_EN: 0
; COMPUTE_PGM_RSRC2:TIDIG_COMP_CNT: 0
	.section	.text._ZN9rocsparseL26coomvn_aos_segmented_loopsILj256EiaaiiEEvlT0_NS_24const_host_device_scalarIT4_EEPKS1_PKT1_PKT2_PT3_PS1_PS3_21rocsparse_index_base_b,"axG",@progbits,_ZN9rocsparseL26coomvn_aos_segmented_loopsILj256EiaaiiEEvlT0_NS_24const_host_device_scalarIT4_EEPKS1_PKT1_PKT2_PT3_PS1_PS3_21rocsparse_index_base_b,comdat
	.globl	_ZN9rocsparseL26coomvn_aos_segmented_loopsILj256EiaaiiEEvlT0_NS_24const_host_device_scalarIT4_EEPKS1_PKT1_PKT2_PT3_PS1_PS3_21rocsparse_index_base_b ; -- Begin function _ZN9rocsparseL26coomvn_aos_segmented_loopsILj256EiaaiiEEvlT0_NS_24const_host_device_scalarIT4_EEPKS1_PKT1_PKT2_PT3_PS1_PS3_21rocsparse_index_base_b
	.p2align	8
	.type	_ZN9rocsparseL26coomvn_aos_segmented_loopsILj256EiaaiiEEvlT0_NS_24const_host_device_scalarIT4_EEPKS1_PKT1_PKT2_PT3_PS1_PS3_21rocsparse_index_base_b,@function
_ZN9rocsparseL26coomvn_aos_segmented_loopsILj256EiaaiiEEvlT0_NS_24const_host_device_scalarIT4_EEPKS1_PKT1_PKT2_PT3_PS1_PS3_21rocsparse_index_base_b: ; @_ZN9rocsparseL26coomvn_aos_segmented_loopsILj256EiaaiiEEvlT0_NS_24const_host_device_scalarIT4_EEPKS1_PKT1_PKT2_PT3_PS1_PS3_21rocsparse_index_base_b
; %bb.0:
	s_clause 0x1
	s_load_b64 s[24:25], s[0:1], 0x48
	s_load_b64 s[2:3], s[0:1], 0x10
	s_mov_b32 s4, 0
	s_wait_kmcnt 0x0
	s_bitcmp0_b32 s25, 0
	s_cbranch_scc0 .LBB34_2
; %bb.1:
	s_load_b32 s23, s[2:3], 0x0
	s_and_not1_b32 vcc_lo, exec_lo, s4
	s_cbranch_vccz .LBB34_3
	s_branch .LBB34_4
.LBB34_2:
                                        ; implicit-def: $sgpr23
.LBB34_3:
	s_wait_kmcnt 0x0
	s_mov_b32 s23, s2
.LBB34_4:
	s_wait_kmcnt 0x0
	s_cmp_eq_u32 s23, 0
	s_cbranch_scc1 .LBB34_91
; %bb.5:
	s_clause 0x1
	s_load_b96 s[20:22], s[0:1], 0x0
	s_load_b128 s[12:15], s[0:1], 0x18
	s_bfe_u32 s2, ttmp6, 0x4000c
	s_load_b64 s[28:29], s[0:1], 0x28
	s_add_co_i32 s2, s2, 1
	s_and_b32 s3, ttmp6, 15
	s_mul_i32 s2, ttmp9, s2
	s_getreg_b32 s4, hwreg(HW_REG_IB_STS2, 6, 4)
	s_add_co_i32 s3, s3, s2
	s_cmp_eq_u32 s4, 0
	v_dual_mov_b32 v3, 0 :: v_dual_mov_b32 v6, -1
	s_cselect_b32 s30, ttmp9, s3
	s_delay_alu instid0(VALU_DEP_1) | instskip(SKIP_2) | instid1(SALU_CYCLE_1)
	v_mov_b32_e32 v9, v3
	s_wait_kmcnt 0x0
	s_mul_i32 s2, s30, s22
	v_lshl_or_b32 v2, s2, 8, v0
	s_mov_b32 s2, exec_lo
	s_delay_alu instid0(VALU_DEP_1)
	v_lshl_add_u64 v[4:5], v[2:3], 3, s[12:13]
	v_cmpx_gt_i64_e64 s[20:21], v[2:3]
	s_cbranch_execz .LBB34_7
; %bb.6:
	global_load_b64 v[6:7], v[4:5], off th:TH_LOAD_NT
	s_ashr_i32 s25, s24, 31
	v_add_nc_u64_e32 v[10:11], s[14:15], v[2:3]
	s_sub_nc_u64 s[4:5], 0, s[24:25]
	s_wait_loadcnt 0x0
	v_dual_mov_b32 v8, v7 :: v_dual_ashrrev_i32 v9, 31, v7
	v_subrev_nc_u32_e32 v6, s24, v6
	s_delay_alu instid0(VALU_DEP_2) | instskip(NEXT) | instid1(VALU_DEP_1)
	v_add_nc_u64_e32 v[8:9], s[28:29], v[8:9]
	v_add_nc_u64_e32 v[8:9], s[4:5], v[8:9]
	global_load_i8 v1, v[10:11], off th:TH_LOAD_NT
	global_load_i8 v7, v[8:9], off
	s_wait_loadcnt 0x0
	v_mul_i32_i24_e32 v9, v7, v1
.LBB34_7:
	s_or_b32 exec_lo, exec_lo, s2
	v_lshlrev_b32_e32 v1, 2, v0
	v_cmp_eq_u32_e64 s2, 0, v0
	v_cmp_ne_u32_e64 s3, 0, v0
	s_delay_alu instid0(VALU_DEP_3)
	v_or_b32_e32 v7, 0x400, v1
	v_add_nc_u32_e32 v8, -4, v1
	ds_store_2addr_stride64_b32 v1, v6, v9 offset1:4
	s_wait_dscnt 0x0
	s_barrier_signal -1
	s_barrier_wait -1
	s_and_saveexec_b32 s4, s3
	s_cbranch_execz .LBB34_11
; %bb.8:
	ds_load_b32 v10, v8
	s_mov_b32 s5, exec_lo
	s_wait_dscnt 0x0
	v_cmpx_eq_u32_e64 v6, v10
	s_cbranch_execz .LBB34_10
; %bb.9:
	v_add_nc_u32_e32 v10, -4, v7
	ds_load_b32 v10, v10
	s_wait_dscnt 0x0
	v_add_nc_u32_e32 v9, v10, v9
.LBB34_10:
	s_or_b32 exec_lo, exec_lo, s5
.LBB34_11:
	s_delay_alu instid0(SALU_CYCLE_1)
	s_or_b32 exec_lo, exec_lo, s4
	v_cmp_lt_u32_e64 s4, 1, v0
	v_add_nc_u32_e32 v10, -8, v1
	s_barrier_signal -1
	s_barrier_wait -1
	ds_store_b32 v7, v9
	s_wait_dscnt 0x0
	s_barrier_signal -1
	s_barrier_wait -1
	s_and_saveexec_b32 s5, s4
	s_cbranch_execz .LBB34_15
; %bb.12:
	ds_load_b32 v11, v10
	s_mov_b32 s6, exec_lo
	s_wait_dscnt 0x0
	v_cmpx_eq_u32_e64 v6, v11
	s_cbranch_execz .LBB34_14
; %bb.13:
	v_add_nc_u32_e32 v11, -8, v7
	ds_load_b32 v11, v11
	s_wait_dscnt 0x0
	v_add_nc_u32_e32 v9, v11, v9
.LBB34_14:
	s_or_b32 exec_lo, exec_lo, s6
.LBB34_15:
	s_delay_alu instid0(SALU_CYCLE_1)
	s_or_b32 exec_lo, exec_lo, s5
	v_cmp_lt_u32_e64 s5, 3, v0
	v_add_nc_u32_e32 v11, -16, v1
	s_barrier_signal -1
	s_barrier_wait -1
	ds_store_b32 v7, v9
	s_wait_dscnt 0x0
	s_barrier_signal -1
	s_barrier_wait -1
	s_and_saveexec_b32 s6, s5
	s_cbranch_execz .LBB34_19
; %bb.16:
	ds_load_b32 v12, v11
	s_mov_b32 s7, exec_lo
	s_wait_dscnt 0x0
	v_cmpx_eq_u32_e64 v6, v12
	s_cbranch_execz .LBB34_18
; %bb.17:
	v_add_nc_u32_e32 v12, -16, v7
	ds_load_b32 v12, v12
	s_wait_dscnt 0x0
	v_add_nc_u32_e32 v9, v12, v9
.LBB34_18:
	s_or_b32 exec_lo, exec_lo, s7
.LBB34_19:
	s_delay_alu instid0(SALU_CYCLE_1)
	s_or_b32 exec_lo, exec_lo, s6
	v_cmp_lt_u32_e64 s6, 7, v0
	v_subrev_nc_u32_e32 v12, 32, v1
	s_barrier_signal -1
	s_barrier_wait -1
	ds_store_b32 v7, v9
	s_wait_dscnt 0x0
	s_barrier_signal -1
	s_barrier_wait -1
	s_and_saveexec_b32 s7, s6
	s_cbranch_execz .LBB34_23
; %bb.20:
	ds_load_b32 v13, v12
	s_mov_b32 s8, exec_lo
	s_wait_dscnt 0x0
	v_cmpx_eq_u32_e64 v6, v13
	s_cbranch_execz .LBB34_22
; %bb.21:
	v_subrev_nc_u32_e32 v13, 32, v7
	ds_load_b32 v13, v13
	s_wait_dscnt 0x0
	v_add_nc_u32_e32 v9, v13, v9
.LBB34_22:
	s_or_b32 exec_lo, exec_lo, s8
.LBB34_23:
	s_delay_alu instid0(SALU_CYCLE_1)
	s_or_b32 exec_lo, exec_lo, s7
	v_cmp_lt_u32_e64 s7, 15, v0
	v_subrev_nc_u32_e32 v13, 64, v1
	s_barrier_signal -1
	s_barrier_wait -1
	ds_store_b32 v7, v9
	s_wait_dscnt 0x0
	s_barrier_signal -1
	s_barrier_wait -1
	s_and_saveexec_b32 s8, s7
	s_cbranch_execz .LBB34_27
; %bb.24:
	ds_load_b32 v14, v13
	s_mov_b32 s9, exec_lo
	s_wait_dscnt 0x0
	v_cmpx_eq_u32_e64 v6, v14
	s_cbranch_execz .LBB34_26
; %bb.25:
	v_subrev_nc_u32_e32 v14, 64, v7
	ds_load_b32 v14, v14
	s_wait_dscnt 0x0
	v_add_nc_u32_e32 v9, v14, v9
.LBB34_26:
	s_or_b32 exec_lo, exec_lo, s9
.LBB34_27:
	s_delay_alu instid0(SALU_CYCLE_1)
	s_or_b32 exec_lo, exec_lo, s8
	v_cmp_lt_u32_e64 s8, 31, v0
	v_add_nc_u32_e32 v14, 0xffffff80, v1
	s_barrier_signal -1
	s_barrier_wait -1
	ds_store_b32 v7, v9
	s_wait_dscnt 0x0
	s_barrier_signal -1
	s_barrier_wait -1
	s_and_saveexec_b32 s9, s8
	s_cbranch_execz .LBB34_31
; %bb.28:
	ds_load_b32 v15, v14
	s_mov_b32 s10, exec_lo
	s_wait_dscnt 0x0
	v_cmpx_eq_u32_e64 v6, v15
	s_cbranch_execz .LBB34_30
; %bb.29:
	v_add_nc_u32_e32 v15, 0xffffff80, v7
	ds_load_b32 v15, v15
	s_wait_dscnt 0x0
	v_add_nc_u32_e32 v9, v15, v9
.LBB34_30:
	s_or_b32 exec_lo, exec_lo, s10
.LBB34_31:
	s_delay_alu instid0(SALU_CYCLE_1)
	s_or_b32 exec_lo, exec_lo, s9
	v_cmp_lt_u32_e64 s9, 63, v0
	v_add_nc_u32_e32 v15, 0xffffff00, v1
	s_barrier_signal -1
	s_barrier_wait -1
	ds_store_b32 v7, v9
	s_wait_dscnt 0x0
	s_barrier_signal -1
	s_barrier_wait -1
	s_and_saveexec_b32 s10, s9
	s_cbranch_execz .LBB34_35
; %bb.32:
	ds_load_b32 v16, v15
	s_mov_b32 s11, exec_lo
	s_wait_dscnt 0x0
	v_cmpx_eq_u32_e64 v6, v16
	s_cbranch_execz .LBB34_34
; %bb.33:
	v_add_nc_u32_e32 v16, 0xffffff00, v7
	ds_load_b32 v16, v16
	s_wait_dscnt 0x0
	v_add_nc_u32_e32 v9, v16, v9
.LBB34_34:
	s_or_b32 exec_lo, exec_lo, s11
.LBB34_35:
	s_delay_alu instid0(SALU_CYCLE_1)
	s_or_b32 exec_lo, exec_lo, s10
	s_load_b64 s[26:27], s[0:1], 0x30
	v_cmp_lt_u32_e64 s10, 0x7f, v0
	v_add_nc_u32_e32 v16, 0xfffffe00, v1
	s_barrier_signal -1
	s_barrier_wait -1
	ds_store_b32 v7, v9
	s_wait_dscnt 0x0
	s_barrier_signal -1
	s_barrier_wait -1
	s_and_saveexec_b32 s11, s10
	s_cbranch_execz .LBB34_39
; %bb.36:
	ds_load_b32 v17, v16
	s_mov_b32 s12, exec_lo
	s_wait_dscnt 0x0
	v_cmpx_eq_u32_e64 v6, v17
	s_cbranch_execz .LBB34_38
; %bb.37:
	v_add_nc_u32_e32 v17, 0xfffffe00, v7
	ds_load_b32 v17, v17
	s_wait_dscnt 0x0
	v_add_nc_u32_e32 v9, v17, v9
.LBB34_38:
	s_or_b32 exec_lo, exec_lo, s12
.LBB34_39:
	s_delay_alu instid0(SALU_CYCLE_1)
	s_or_b32 exec_lo, exec_lo, s11
	v_cmp_gt_u32_e64 s11, 0xff, v0
	s_barrier_signal -1
	s_barrier_wait -1
	ds_store_b32 v7, v9
	s_wait_dscnt 0x0
	s_barrier_signal -1
	s_barrier_wait -1
	s_and_saveexec_b32 s13, s11
	s_cbranch_execz .LBB34_42
; %bb.40:
	ds_load_b32 v17, v1 offset:4
	v_cmp_lt_i32_e64 s12, -1, v6
	s_wait_dscnt 0x0
	v_cmp_ne_u32_e32 vcc_lo, v6, v17
	s_and_b32 s12, s12, vcc_lo
	s_delay_alu instid0(SALU_CYCLE_1)
	s_and_b32 exec_lo, exec_lo, s12
	s_cbranch_execz .LBB34_42
; %bb.41:
	s_wait_kmcnt 0x0
	global_load_b32 v17, v6, s[26:27] scale_offset
	s_wait_loadcnt 0x0
	v_mad_u32 v17, v9, s23, v17
	global_store_b32 v6, v17, s[26:27] scale_offset
.LBB34_42:
	s_wait_xcnt 0x0
	s_or_b32 exec_lo, exec_lo, s13
	s_load_b128 s[16:19], s[0:1], 0x38
	s_cmp_lt_i32 s22, 2
	s_cbranch_scc1 .LBB34_89
; %bb.43:
	v_add_nc_u64_e32 v[2:3], 0x100, v[2:3]
	v_add_nc_u64_e32 v[4:5], 0x800, v[4:5]
	s_ashr_i32 s25, s24, 31
	v_dual_add_nc_u32 v17, -4, v7 :: v_dual_add_nc_u32 v18, -8, v7
	v_dual_add_nc_u32 v19, -16, v7 :: v_dual_mov_b32 v25, 0
	v_subrev_nc_u32_e32 v20, 32, v7
	v_subrev_nc_u32_e32 v21, 64, v7
	v_add_nc_u32_e32 v22, 0xffffff80, v7
	v_add_nc_u32_e32 v23, 0xffffff00, v7
	;; [unrolled: 1-line block ×3, first 2 shown]
	s_wait_xcnt 0x0
	s_sub_nc_u64 s[0:1], 0, s[24:25]
	s_delay_alu instid0(SALU_CYCLE_1)
	s_add_nc_u64 s[12:13], s[28:29], s[0:1]
	s_add_co_i32 s1, s22, -1
	s_branch .LBB34_45
.LBB34_44:                              ;   in Loop: Header=BB34_45 Depth=1
	s_wait_xcnt 0x0
	s_or_b32 exec_lo, exec_lo, s22
	v_add_nc_u64_e32 v[2:3], 0x100, v[2:3]
	v_add_nc_u64_e32 v[4:5], 0x800, v[4:5]
	s_add_co_i32 s1, s1, -1
	s_delay_alu instid0(SALU_CYCLE_1)
	s_cmp_eq_u32 s1, 0
	s_cbranch_scc1 .LBB34_89
.LBB34_45:                              ; =>This Inner Loop Header: Depth=1
	v_dual_mov_b32 v6, -1 :: v_dual_mov_b32 v9, 0
	s_mov_b32 s0, exec_lo
	v_cmpx_gt_i64_e64 s[20:21], v[2:3]
	s_cbranch_execz .LBB34_47
; %bb.46:                               ;   in Loop: Header=BB34_45 Depth=1
	global_load_b64 v[26:27], v[4:5], off th:TH_LOAD_NT
	v_add_nc_u64_e32 v[28:29], s[14:15], v[2:3]
	global_load_i8 v9, v[28:29], off th:TH_LOAD_NT
	s_wait_loadcnt 0x1
	global_load_i8 v30, v27, s[12:13]
	v_subrev_nc_u32_e32 v6, s24, v26
	s_wait_loadcnt 0x0
	v_mul_i32_i24_e32 v9, v30, v9
.LBB34_47:                              ;   in Loop: Header=BB34_45 Depth=1
	s_wait_xcnt 0x0
	s_or_b32 exec_lo, exec_lo, s0
	s_and_saveexec_b32 s0, s2
	s_cbranch_execz .LBB34_54
; %bb.48:                               ;   in Loop: Header=BB34_45 Depth=1
	ds_load_b32 v26, v25 offset:1020
	s_mov_b32 s22, exec_lo
	s_wait_dscnt 0x0
	v_cmpx_ne_u32_e64 v6, v26
	s_xor_b32 s22, exec_lo, s22
	s_cbranch_execz .LBB34_51
; %bb.49:                               ;   in Loop: Header=BB34_45 Depth=1
	v_cmp_gt_i32_e32 vcc_lo, 0, v26
	s_cbranch_vccnz .LBB34_51
; %bb.50:                               ;   in Loop: Header=BB34_45 Depth=1
	s_wait_kmcnt 0x0
	global_load_b32 v27, v26, s[26:27] scale_offset
	ds_load_b32 v28, v25 offset:2044
	s_wait_dscnt 0x0
	v_mul_lo_u32 v28, v28, s23
	s_wait_loadcnt 0x0
	s_delay_alu instid0(VALU_DEP_1)
	v_add_nc_u32_e32 v27, v28, v27
	global_store_b32 v26, v27, s[26:27] scale_offset
.LBB34_51:                              ;   in Loop: Header=BB34_45 Depth=1
	s_wait_xcnt 0x0
	s_and_not1_saveexec_b32 s22, s22
	s_cbranch_execz .LBB34_53
; %bb.52:                               ;   in Loop: Header=BB34_45 Depth=1
	ds_load_b32 v26, v25 offset:2044
	s_wait_dscnt 0x0
	v_add_nc_u32_e32 v9, v26, v9
.LBB34_53:                              ;   in Loop: Header=BB34_45 Depth=1
	s_or_b32 exec_lo, exec_lo, s22
.LBB34_54:                              ;   in Loop: Header=BB34_45 Depth=1
	s_delay_alu instid0(SALU_CYCLE_1)
	s_or_b32 exec_lo, exec_lo, s0
	s_wait_storecnt 0x0
	s_barrier_signal -1
	s_barrier_wait -1
	ds_store_b32 v1, v6
	ds_store_b32 v7, v9
	s_wait_dscnt 0x0
	s_barrier_signal -1
	s_barrier_wait -1
	s_and_saveexec_b32 s0, s3
	s_cbranch_execz .LBB34_58
; %bb.55:                               ;   in Loop: Header=BB34_45 Depth=1
	ds_load_b32 v26, v8
	s_mov_b32 s22, exec_lo
	s_wait_dscnt 0x0
	v_cmpx_eq_u32_e64 v6, v26
	s_cbranch_execz .LBB34_57
; %bb.56:                               ;   in Loop: Header=BB34_45 Depth=1
	ds_load_b32 v26, v17
	s_wait_dscnt 0x0
	v_add_nc_u32_e32 v9, v26, v9
.LBB34_57:                              ;   in Loop: Header=BB34_45 Depth=1
	s_or_b32 exec_lo, exec_lo, s22
.LBB34_58:                              ;   in Loop: Header=BB34_45 Depth=1
	s_delay_alu instid0(SALU_CYCLE_1)
	s_or_b32 exec_lo, exec_lo, s0
	s_barrier_signal -1
	s_barrier_wait -1
	ds_store_b32 v7, v9
	s_wait_dscnt 0x0
	s_barrier_signal -1
	s_barrier_wait -1
	s_and_saveexec_b32 s0, s4
	s_cbranch_execz .LBB34_62
; %bb.59:                               ;   in Loop: Header=BB34_45 Depth=1
	ds_load_b32 v26, v10
	s_mov_b32 s22, exec_lo
	s_wait_dscnt 0x0
	v_cmpx_eq_u32_e64 v6, v26
	s_cbranch_execz .LBB34_61
; %bb.60:                               ;   in Loop: Header=BB34_45 Depth=1
	ds_load_b32 v26, v18
	s_wait_dscnt 0x0
	v_add_nc_u32_e32 v9, v26, v9
.LBB34_61:                              ;   in Loop: Header=BB34_45 Depth=1
	s_or_b32 exec_lo, exec_lo, s22
.LBB34_62:                              ;   in Loop: Header=BB34_45 Depth=1
	s_delay_alu instid0(SALU_CYCLE_1)
	s_or_b32 exec_lo, exec_lo, s0
	s_barrier_signal -1
	s_barrier_wait -1
	;; [unrolled: 23-line block ×8, first 2 shown]
	ds_store_b32 v7, v9
	s_wait_dscnt 0x0
	s_barrier_signal -1
	s_barrier_wait -1
	s_and_saveexec_b32 s22, s11
	s_cbranch_execz .LBB34_44
; %bb.87:                               ;   in Loop: Header=BB34_45 Depth=1
	ds_load_b32 v26, v1 offset:4
	v_cmp_lt_i32_e64 s0, -1, v6
	s_wait_dscnt 0x0
	v_cmp_ne_u32_e32 vcc_lo, v6, v26
	s_and_b32 s0, s0, vcc_lo
	s_delay_alu instid0(SALU_CYCLE_1)
	s_and_b32 exec_lo, exec_lo, s0
	s_cbranch_execz .LBB34_44
; %bb.88:                               ;   in Loop: Header=BB34_45 Depth=1
	s_wait_kmcnt 0x0
	global_load_b32 v26, v6, s[26:27] scale_offset
	s_wait_loadcnt 0x0
	v_mad_u32 v26, v9, s23, v26
	global_store_b32 v6, v26, s[26:27] scale_offset
	s_branch .LBB34_44
.LBB34_89:
	s_wait_xcnt 0x0
	s_mov_b32 s0, exec_lo
	v_cmpx_eq_u32_e32 0xff, v0
	s_cbranch_execz .LBB34_91
; %bb.90:
	v_mul_lo_u32 v0, v9, s23
	v_mov_b32_e32 v1, s30
	s_wait_kmcnt 0x0
	s_clause 0x1
	global_store_b32 v1, v6, s[16:17] scale_offset th:TH_STORE_NT
	global_store_b32 v1, v0, s[18:19] scale_offset th:TH_STORE_NT
.LBB34_91:
	s_endpgm
	.section	.rodata,"a",@progbits
	.p2align	6, 0x0
	.amdhsa_kernel _ZN9rocsparseL26coomvn_aos_segmented_loopsILj256EiaaiiEEvlT0_NS_24const_host_device_scalarIT4_EEPKS1_PKT1_PKT2_PT3_PS1_PS3_21rocsparse_index_base_b
		.amdhsa_group_segment_fixed_size 2048
		.amdhsa_private_segment_fixed_size 0
		.amdhsa_kernarg_size 80
		.amdhsa_user_sgpr_count 2
		.amdhsa_user_sgpr_dispatch_ptr 0
		.amdhsa_user_sgpr_queue_ptr 0
		.amdhsa_user_sgpr_kernarg_segment_ptr 1
		.amdhsa_user_sgpr_dispatch_id 0
		.amdhsa_user_sgpr_kernarg_preload_length 0
		.amdhsa_user_sgpr_kernarg_preload_offset 0
		.amdhsa_user_sgpr_private_segment_size 0
		.amdhsa_wavefront_size32 1
		.amdhsa_uses_dynamic_stack 0
		.amdhsa_enable_private_segment 0
		.amdhsa_system_sgpr_workgroup_id_x 1
		.amdhsa_system_sgpr_workgroup_id_y 0
		.amdhsa_system_sgpr_workgroup_id_z 0
		.amdhsa_system_sgpr_workgroup_info 0
		.amdhsa_system_vgpr_workitem_id 0
		.amdhsa_next_free_vgpr 31
		.amdhsa_next_free_sgpr 31
		.amdhsa_named_barrier_count 0
		.amdhsa_reserve_vcc 1
		.amdhsa_float_round_mode_32 0
		.amdhsa_float_round_mode_16_64 0
		.amdhsa_float_denorm_mode_32 3
		.amdhsa_float_denorm_mode_16_64 3
		.amdhsa_fp16_overflow 0
		.amdhsa_memory_ordered 1
		.amdhsa_forward_progress 1
		.amdhsa_inst_pref_size 21
		.amdhsa_round_robin_scheduling 0
		.amdhsa_exception_fp_ieee_invalid_op 0
		.amdhsa_exception_fp_denorm_src 0
		.amdhsa_exception_fp_ieee_div_zero 0
		.amdhsa_exception_fp_ieee_overflow 0
		.amdhsa_exception_fp_ieee_underflow 0
		.amdhsa_exception_fp_ieee_inexact 0
		.amdhsa_exception_int_div_zero 0
	.end_amdhsa_kernel
	.section	.text._ZN9rocsparseL26coomvn_aos_segmented_loopsILj256EiaaiiEEvlT0_NS_24const_host_device_scalarIT4_EEPKS1_PKT1_PKT2_PT3_PS1_PS3_21rocsparse_index_base_b,"axG",@progbits,_ZN9rocsparseL26coomvn_aos_segmented_loopsILj256EiaaiiEEvlT0_NS_24const_host_device_scalarIT4_EEPKS1_PKT1_PKT2_PT3_PS1_PS3_21rocsparse_index_base_b,comdat
.Lfunc_end34:
	.size	_ZN9rocsparseL26coomvn_aos_segmented_loopsILj256EiaaiiEEvlT0_NS_24const_host_device_scalarIT4_EEPKS1_PKT1_PKT2_PT3_PS1_PS3_21rocsparse_index_base_b, .Lfunc_end34-_ZN9rocsparseL26coomvn_aos_segmented_loopsILj256EiaaiiEEvlT0_NS_24const_host_device_scalarIT4_EEPKS1_PKT1_PKT2_PT3_PS1_PS3_21rocsparse_index_base_b
                                        ; -- End function
	.set _ZN9rocsparseL26coomvn_aos_segmented_loopsILj256EiaaiiEEvlT0_NS_24const_host_device_scalarIT4_EEPKS1_PKT1_PKT2_PT3_PS1_PS3_21rocsparse_index_base_b.num_vgpr, 31
	.set _ZN9rocsparseL26coomvn_aos_segmented_loopsILj256EiaaiiEEvlT0_NS_24const_host_device_scalarIT4_EEPKS1_PKT1_PKT2_PT3_PS1_PS3_21rocsparse_index_base_b.num_agpr, 0
	.set _ZN9rocsparseL26coomvn_aos_segmented_loopsILj256EiaaiiEEvlT0_NS_24const_host_device_scalarIT4_EEPKS1_PKT1_PKT2_PT3_PS1_PS3_21rocsparse_index_base_b.numbered_sgpr, 31
	.set _ZN9rocsparseL26coomvn_aos_segmented_loopsILj256EiaaiiEEvlT0_NS_24const_host_device_scalarIT4_EEPKS1_PKT1_PKT2_PT3_PS1_PS3_21rocsparse_index_base_b.num_named_barrier, 0
	.set _ZN9rocsparseL26coomvn_aos_segmented_loopsILj256EiaaiiEEvlT0_NS_24const_host_device_scalarIT4_EEPKS1_PKT1_PKT2_PT3_PS1_PS3_21rocsparse_index_base_b.private_seg_size, 0
	.set _ZN9rocsparseL26coomvn_aos_segmented_loopsILj256EiaaiiEEvlT0_NS_24const_host_device_scalarIT4_EEPKS1_PKT1_PKT2_PT3_PS1_PS3_21rocsparse_index_base_b.uses_vcc, 1
	.set _ZN9rocsparseL26coomvn_aos_segmented_loopsILj256EiaaiiEEvlT0_NS_24const_host_device_scalarIT4_EEPKS1_PKT1_PKT2_PT3_PS1_PS3_21rocsparse_index_base_b.uses_flat_scratch, 0
	.set _ZN9rocsparseL26coomvn_aos_segmented_loopsILj256EiaaiiEEvlT0_NS_24const_host_device_scalarIT4_EEPKS1_PKT1_PKT2_PT3_PS1_PS3_21rocsparse_index_base_b.has_dyn_sized_stack, 0
	.set _ZN9rocsparseL26coomvn_aos_segmented_loopsILj256EiaaiiEEvlT0_NS_24const_host_device_scalarIT4_EEPKS1_PKT1_PKT2_PT3_PS1_PS3_21rocsparse_index_base_b.has_recursion, 0
	.set _ZN9rocsparseL26coomvn_aos_segmented_loopsILj256EiaaiiEEvlT0_NS_24const_host_device_scalarIT4_EEPKS1_PKT1_PKT2_PT3_PS1_PS3_21rocsparse_index_base_b.has_indirect_call, 0
	.section	.AMDGPU.csdata,"",@progbits
; Kernel info:
; codeLenInByte = 2668
; TotalNumSgprs: 33
; NumVgprs: 31
; ScratchSize: 0
; MemoryBound: 0
; FloatMode: 240
; IeeeMode: 1
; LDSByteSize: 2048 bytes/workgroup (compile time only)
; SGPRBlocks: 0
; VGPRBlocks: 1
; NumSGPRsForWavesPerEU: 33
; NumVGPRsForWavesPerEU: 31
; NamedBarCnt: 0
; Occupancy: 16
; WaveLimiterHint : 1
; COMPUTE_PGM_RSRC2:SCRATCH_EN: 0
; COMPUTE_PGM_RSRC2:USER_SGPR: 2
; COMPUTE_PGM_RSRC2:TRAP_HANDLER: 0
; COMPUTE_PGM_RSRC2:TGID_X_EN: 1
; COMPUTE_PGM_RSRC2:TGID_Y_EN: 0
; COMPUTE_PGM_RSRC2:TGID_Z_EN: 0
; COMPUTE_PGM_RSRC2:TIDIG_COMP_CNT: 0
	.section	.text._ZN9rocsparseL29coomvn_segmented_loops_reduceILj256EiiiEEvT0_NS_24const_host_device_scalarIT2_EEPKS1_PKS3_PT1_b,"axG",@progbits,_ZN9rocsparseL29coomvn_segmented_loops_reduceILj256EiiiEEvT0_NS_24const_host_device_scalarIT2_EEPKS1_PKS3_PT1_b,comdat
	.globl	_ZN9rocsparseL29coomvn_segmented_loops_reduceILj256EiiiEEvT0_NS_24const_host_device_scalarIT2_EEPKS1_PKS3_PT1_b ; -- Begin function _ZN9rocsparseL29coomvn_segmented_loops_reduceILj256EiiiEEvT0_NS_24const_host_device_scalarIT2_EEPKS1_PKS3_PT1_b
	.p2align	8
	.type	_ZN9rocsparseL29coomvn_segmented_loops_reduceILj256EiiiEEvT0_NS_24const_host_device_scalarIT2_EEPKS1_PKS3_PT1_b,@function
_ZN9rocsparseL29coomvn_segmented_loops_reduceILj256EiiiEEvT0_NS_24const_host_device_scalarIT2_EEPKS1_PKS3_PT1_b: ; @_ZN9rocsparseL29coomvn_segmented_loops_reduceILj256EiiiEEvT0_NS_24const_host_device_scalarIT2_EEPKS1_PKS3_PT1_b
; %bb.0:
	s_clause 0x1
	s_load_b32 s4, s[0:1], 0x28
	s_load_b64 s[2:3], s[0:1], 0x8
	s_wait_kmcnt 0x0
	s_bitcmp0_b32 s4, 0
	s_mov_b32 s4, 0
	s_cbranch_scc0 .LBB35_2
; %bb.1:
	s_load_b32 s3, s[2:3], 0x0
	s_and_not1_b32 vcc_lo, exec_lo, s4
	s_cbranch_vccz .LBB35_3
	s_branch .LBB35_4
.LBB35_2:
                                        ; implicit-def: $sgpr3
.LBB35_3:
	s_wait_kmcnt 0x0
	s_mov_b32 s3, s2
.LBB35_4:
	s_wait_kmcnt 0x0
	s_cmp_eq_u32 s3, 0
	s_cbranch_scc1 .LBB35_46
; %bb.5:
	s_load_b32 s8, s[0:1], 0x0
	s_wait_kmcnt 0x0
	s_cmp_lt_i32 s8, 1
	s_cbranch_scc1 .LBB35_46
; %bb.6:
	s_clause 0x1
	s_load_b128 s[4:7], s[0:1], 0x10
	s_load_b64 s[2:3], s[0:1], 0x20
	s_wait_xcnt 0x0
	v_sub_co_u32 v4, s0, v0, 1
	s_xor_b32 s9, s0, -1
	v_sub_co_u32 v6, s0, v0, 2
	s_xor_b32 s10, s0, -1
	;; [unrolled: 2-line block ×5, first 2 shown]
	v_sub_co_u32 v14, s0, v0, 32
	v_lshlrev_b32_e32 v1, 2, v0
	s_xor_b32 s14, s0, -1
	v_sub_co_u32 v16, s0, v0, 64
	v_subrev_co_u32 v18, s1, 0x80, v0
	s_delay_alu instid0(VALU_DEP_3)
	v_or_b32_e32 v2, 0x400, v1
	v_dual_add_nc_u32 v3, -4, v1 :: v_dual_add_nc_u32 v5, -8, v1
	v_lshl_add_u32 v4, v4, 2, 0x400
	v_lshl_add_u32 v6, v6, 2, 0x400
	v_add_nc_u32_e32 v7, -16, v1
	v_lshl_add_u32 v8, v8, 2, 0x400
	v_subrev_nc_u32_e32 v9, 32, v1
	v_lshl_add_u32 v10, v10, 2, 0x400
	v_subrev_nc_u32_e32 v11, 64, v1
	v_lshl_add_u32 v12, v12, 2, 0x400
	v_add_nc_u32_e32 v13, 0xffffff80, v1
	v_lshl_add_u32 v14, v14, 2, 0x400
	v_add_nc_u32_e32 v15, 0xffffff00, v1
	;; [unrolled: 2-line block ×3, first 2 shown]
	v_lshl_add_u32 v18, v18, 2, 0x400
	s_xor_b32 s15, s0, -1
	s_xor_b32 s16, s1, -1
	s_mov_b32 s17, 0
	v_cmp_gt_u32_e32 vcc_lo, 0xff, v0
	s_branch .LBB35_8
.LBB35_7:                               ;   in Loop: Header=BB35_8 Depth=1
	s_wait_xcnt 0x0
	s_or_b32 exec_lo, exec_lo, s0
	s_addk_co_i32 s17, 0x100
	s_wait_storecnt 0x0
	s_cmp_lt_i32 s17, s8
	s_barrier_signal -1
	s_barrier_wait -1
	s_cbranch_scc0 .LBB35_46
.LBB35_8:                               ; =>This Inner Loop Header: Depth=1
	v_dual_add_nc_u32 v21, s17, v0 :: v_dual_mov_b32 v19, 0
	v_dual_mov_b32 v20, -1 :: v_dual_mov_b32 v22, 0
	s_mov_b32 s1, exec_lo
	s_delay_alu instid0(VALU_DEP_2)
	v_cmpx_gt_i32_e64 s8, v21
	s_cbranch_execz .LBB35_10
; %bb.9:                                ;   in Loop: Header=BB35_8 Depth=1
	s_wait_kmcnt 0x0
	s_clause 0x1
	global_load_b32 v20, v21, s[4:5] scale_offset
	global_load_b32 v22, v21, s[6:7] scale_offset
.LBB35_10:                              ;   in Loop: Header=BB35_8 Depth=1
	s_wait_xcnt 0x0
	s_or_b32 exec_lo, exec_lo, s1
	s_wait_loadcnt 0x1
	ds_store_b32 v1, v20
	s_wait_loadcnt 0x0
	ds_store_b32 v2, v22
	s_wait_dscnt 0x0
	s_barrier_signal -1
	s_barrier_wait -1
	s_and_saveexec_b32 s1, s9
	s_cbranch_execz .LBB35_14
; %bb.11:                               ;   in Loop: Header=BB35_8 Depth=1
	ds_load_2addr_b32 v[20:21], v3 offset1:1
	v_mov_b32_e32 v19, 0
	s_mov_b32 s18, exec_lo
	s_wait_dscnt 0x0
	v_cmpx_eq_u32_e64 v21, v20
; %bb.12:                               ;   in Loop: Header=BB35_8 Depth=1
	ds_load_b32 v19, v4
; %bb.13:                               ;   in Loop: Header=BB35_8 Depth=1
	s_or_b32 exec_lo, exec_lo, s18
.LBB35_14:                              ;   in Loop: Header=BB35_8 Depth=1
	s_delay_alu instid0(SALU_CYCLE_1)
	s_or_b32 exec_lo, exec_lo, s1
	s_wait_dscnt 0x0
	s_barrier_signal -1
	s_barrier_wait -1
	ds_load_b32 v20, v2
	s_wait_dscnt 0x0
	v_dual_add_nc_u32 v21, v20, v19 :: v_dual_mov_b32 v19, 0
	v_mov_b32_e32 v20, 0
	ds_store_b32 v2, v21
	s_wait_dscnt 0x0
	s_barrier_signal -1
	s_barrier_wait -1
	s_and_saveexec_b32 s1, s10
	s_cbranch_execz .LBB35_18
; %bb.15:                               ;   in Loop: Header=BB35_8 Depth=1
	ds_load_b32 v20, v1
	ds_load_b32 v21, v5
	s_wait_dscnt 0x0
	v_cmp_eq_u32_e64 s0, v20, v21
	v_mov_b32_e32 v20, 0
	s_and_saveexec_b32 s18, s0
; %bb.16:                               ;   in Loop: Header=BB35_8 Depth=1
	ds_load_b32 v20, v6
; %bb.17:                               ;   in Loop: Header=BB35_8 Depth=1
	s_or_b32 exec_lo, exec_lo, s18
.LBB35_18:                              ;   in Loop: Header=BB35_8 Depth=1
	s_delay_alu instid0(SALU_CYCLE_1)
	s_or_b32 exec_lo, exec_lo, s1
	s_wait_dscnt 0x0
	s_barrier_signal -1
	s_barrier_wait -1
	ds_load_b32 v21, v2
	s_wait_dscnt 0x0
	v_add_nc_u32_e32 v20, v21, v20
	ds_store_b32 v2, v20
	s_wait_dscnt 0x0
	s_barrier_signal -1
	s_barrier_wait -1
	s_and_saveexec_b32 s1, s11
	s_cbranch_execz .LBB35_22
; %bb.19:                               ;   in Loop: Header=BB35_8 Depth=1
	ds_load_b32 v19, v1
	ds_load_b32 v20, v7
	s_wait_dscnt 0x0
	v_cmp_eq_u32_e64 s0, v19, v20
	v_mov_b32_e32 v19, 0
	s_and_saveexec_b32 s18, s0
; %bb.20:                               ;   in Loop: Header=BB35_8 Depth=1
	ds_load_b32 v19, v8
; %bb.21:                               ;   in Loop: Header=BB35_8 Depth=1
	s_or_b32 exec_lo, exec_lo, s18
.LBB35_22:                              ;   in Loop: Header=BB35_8 Depth=1
	s_delay_alu instid0(SALU_CYCLE_1)
	s_or_b32 exec_lo, exec_lo, s1
	s_wait_dscnt 0x0
	s_barrier_signal -1
	s_barrier_wait -1
	ds_load_b32 v20, v2
	s_wait_dscnt 0x0
	v_dual_add_nc_u32 v21, v20, v19 :: v_dual_mov_b32 v19, 0
	v_mov_b32_e32 v20, 0
	ds_store_b32 v2, v21
	s_wait_dscnt 0x0
	s_barrier_signal -1
	s_barrier_wait -1
	s_and_saveexec_b32 s1, s12
	s_cbranch_execz .LBB35_26
; %bb.23:                               ;   in Loop: Header=BB35_8 Depth=1
	ds_load_b32 v20, v1
	ds_load_b32 v21, v9
	s_wait_dscnt 0x0
	v_cmp_eq_u32_e64 s0, v20, v21
	v_mov_b32_e32 v20, 0
	s_and_saveexec_b32 s18, s0
; %bb.24:                               ;   in Loop: Header=BB35_8 Depth=1
	ds_load_b32 v20, v10
; %bb.25:                               ;   in Loop: Header=BB35_8 Depth=1
	s_or_b32 exec_lo, exec_lo, s18
.LBB35_26:                              ;   in Loop: Header=BB35_8 Depth=1
	s_delay_alu instid0(SALU_CYCLE_1)
	s_or_b32 exec_lo, exec_lo, s1
	s_wait_dscnt 0x0
	s_barrier_signal -1
	s_barrier_wait -1
	ds_load_b32 v21, v2
	s_wait_dscnt 0x0
	v_add_nc_u32_e32 v20, v21, v20
	ds_store_b32 v2, v20
	s_wait_dscnt 0x0
	s_barrier_signal -1
	s_barrier_wait -1
	s_and_saveexec_b32 s1, s13
	s_cbranch_execz .LBB35_30
; %bb.27:                               ;   in Loop: Header=BB35_8 Depth=1
	ds_load_b32 v19, v1
	ds_load_b32 v20, v11
	s_wait_dscnt 0x0
	v_cmp_eq_u32_e64 s0, v19, v20
	v_mov_b32_e32 v19, 0
	s_and_saveexec_b32 s18, s0
; %bb.28:                               ;   in Loop: Header=BB35_8 Depth=1
	ds_load_b32 v19, v12
; %bb.29:                               ;   in Loop: Header=BB35_8 Depth=1
	s_or_b32 exec_lo, exec_lo, s18
.LBB35_30:                              ;   in Loop: Header=BB35_8 Depth=1
	;; [unrolled: 53-line block ×3, first 2 shown]
	s_delay_alu instid0(SALU_CYCLE_1)
	s_or_b32 exec_lo, exec_lo, s1
	s_wait_dscnt 0x0
	s_barrier_signal -1
	s_barrier_wait -1
	ds_load_b32 v20, v2
	s_wait_dscnt 0x0
	v_dual_mov_b32 v19, 0 :: v_dual_add_nc_u32 v20, v20, v19
	ds_store_b32 v2, v20
	s_wait_dscnt 0x0
	s_barrier_signal -1
	s_barrier_wait -1
	s_and_saveexec_b32 s1, s16
	s_cbranch_execz .LBB35_42
; %bb.39:                               ;   in Loop: Header=BB35_8 Depth=1
	ds_load_b32 v19, v1
	ds_load_b32 v20, v17
	s_wait_dscnt 0x0
	v_cmp_eq_u32_e64 s0, v19, v20
	v_mov_b32_e32 v19, 0
	s_and_saveexec_b32 s18, s0
; %bb.40:                               ;   in Loop: Header=BB35_8 Depth=1
	ds_load_b32 v19, v18
; %bb.41:                               ;   in Loop: Header=BB35_8 Depth=1
	s_or_b32 exec_lo, exec_lo, s18
.LBB35_42:                              ;   in Loop: Header=BB35_8 Depth=1
	s_delay_alu instid0(SALU_CYCLE_1)
	s_or_b32 exec_lo, exec_lo, s1
	s_wait_dscnt 0x0
	s_barrier_signal -1
	s_barrier_wait -1
	ds_load_b32 v20, v2
	s_wait_dscnt 0x0
	v_dual_mov_b32 v20, -1 :: v_dual_add_nc_u32 v19, v20, v19
	ds_store_b32 v2, v19
	s_wait_dscnt 0x0
	s_barrier_signal -1
	s_barrier_wait -1
	ds_load_b32 v19, v1
	s_and_saveexec_b32 s0, vcc_lo
; %bb.43:                               ;   in Loop: Header=BB35_8 Depth=1
	ds_load_b32 v20, v1 offset:4
; %bb.44:                               ;   in Loop: Header=BB35_8 Depth=1
	s_or_b32 exec_lo, exec_lo, s0
	s_wait_dscnt 0x0
	v_cmp_ne_u32_e64 s0, v19, v20
	v_cmp_lt_i32_e64 s1, -1, v19
	s_and_b32 s1, s1, s0
	s_delay_alu instid0(SALU_CYCLE_1)
	s_and_saveexec_b32 s0, s1
	s_cbranch_execz .LBB35_7
; %bb.45:                               ;   in Loop: Header=BB35_8 Depth=1
	s_wait_kmcnt 0x0
	global_load_b32 v20, v19, s[2:3] scale_offset
	ds_load_b32 v21, v2
	s_wait_loadcnt_dscnt 0x0
	v_add_nc_u32_e32 v20, v21, v20
	global_store_b32 v19, v20, s[2:3] scale_offset
	s_branch .LBB35_7
.LBB35_46:
	s_endpgm
	.section	.rodata,"a",@progbits
	.p2align	6, 0x0
	.amdhsa_kernel _ZN9rocsparseL29coomvn_segmented_loops_reduceILj256EiiiEEvT0_NS_24const_host_device_scalarIT2_EEPKS1_PKS3_PT1_b
		.amdhsa_group_segment_fixed_size 2048
		.amdhsa_private_segment_fixed_size 0
		.amdhsa_kernarg_size 44
		.amdhsa_user_sgpr_count 2
		.amdhsa_user_sgpr_dispatch_ptr 0
		.amdhsa_user_sgpr_queue_ptr 0
		.amdhsa_user_sgpr_kernarg_segment_ptr 1
		.amdhsa_user_sgpr_dispatch_id 0
		.amdhsa_user_sgpr_kernarg_preload_length 0
		.amdhsa_user_sgpr_kernarg_preload_offset 0
		.amdhsa_user_sgpr_private_segment_size 0
		.amdhsa_wavefront_size32 1
		.amdhsa_uses_dynamic_stack 0
		.amdhsa_enable_private_segment 0
		.amdhsa_system_sgpr_workgroup_id_x 1
		.amdhsa_system_sgpr_workgroup_id_y 0
		.amdhsa_system_sgpr_workgroup_id_z 0
		.amdhsa_system_sgpr_workgroup_info 0
		.amdhsa_system_vgpr_workitem_id 0
		.amdhsa_next_free_vgpr 23
		.amdhsa_next_free_sgpr 19
		.amdhsa_named_barrier_count 0
		.amdhsa_reserve_vcc 1
		.amdhsa_float_round_mode_32 0
		.amdhsa_float_round_mode_16_64 0
		.amdhsa_float_denorm_mode_32 3
		.amdhsa_float_denorm_mode_16_64 3
		.amdhsa_fp16_overflow 0
		.amdhsa_memory_ordered 1
		.amdhsa_forward_progress 1
		.amdhsa_inst_pref_size 13
		.amdhsa_round_robin_scheduling 0
		.amdhsa_exception_fp_ieee_invalid_op 0
		.amdhsa_exception_fp_denorm_src 0
		.amdhsa_exception_fp_ieee_div_zero 0
		.amdhsa_exception_fp_ieee_overflow 0
		.amdhsa_exception_fp_ieee_underflow 0
		.amdhsa_exception_fp_ieee_inexact 0
		.amdhsa_exception_int_div_zero 0
	.end_amdhsa_kernel
	.section	.text._ZN9rocsparseL29coomvn_segmented_loops_reduceILj256EiiiEEvT0_NS_24const_host_device_scalarIT2_EEPKS1_PKS3_PT1_b,"axG",@progbits,_ZN9rocsparseL29coomvn_segmented_loops_reduceILj256EiiiEEvT0_NS_24const_host_device_scalarIT2_EEPKS1_PKS3_PT1_b,comdat
.Lfunc_end35:
	.size	_ZN9rocsparseL29coomvn_segmented_loops_reduceILj256EiiiEEvT0_NS_24const_host_device_scalarIT2_EEPKS1_PKS3_PT1_b, .Lfunc_end35-_ZN9rocsparseL29coomvn_segmented_loops_reduceILj256EiiiEEvT0_NS_24const_host_device_scalarIT2_EEPKS1_PKS3_PT1_b
                                        ; -- End function
	.set _ZN9rocsparseL29coomvn_segmented_loops_reduceILj256EiiiEEvT0_NS_24const_host_device_scalarIT2_EEPKS1_PKS3_PT1_b.num_vgpr, 23
	.set _ZN9rocsparseL29coomvn_segmented_loops_reduceILj256EiiiEEvT0_NS_24const_host_device_scalarIT2_EEPKS1_PKS3_PT1_b.num_agpr, 0
	.set _ZN9rocsparseL29coomvn_segmented_loops_reduceILj256EiiiEEvT0_NS_24const_host_device_scalarIT2_EEPKS1_PKS3_PT1_b.numbered_sgpr, 19
	.set _ZN9rocsparseL29coomvn_segmented_loops_reduceILj256EiiiEEvT0_NS_24const_host_device_scalarIT2_EEPKS1_PKS3_PT1_b.num_named_barrier, 0
	.set _ZN9rocsparseL29coomvn_segmented_loops_reduceILj256EiiiEEvT0_NS_24const_host_device_scalarIT2_EEPKS1_PKS3_PT1_b.private_seg_size, 0
	.set _ZN9rocsparseL29coomvn_segmented_loops_reduceILj256EiiiEEvT0_NS_24const_host_device_scalarIT2_EEPKS1_PKS3_PT1_b.uses_vcc, 1
	.set _ZN9rocsparseL29coomvn_segmented_loops_reduceILj256EiiiEEvT0_NS_24const_host_device_scalarIT2_EEPKS1_PKS3_PT1_b.uses_flat_scratch, 0
	.set _ZN9rocsparseL29coomvn_segmented_loops_reduceILj256EiiiEEvT0_NS_24const_host_device_scalarIT2_EEPKS1_PKS3_PT1_b.has_dyn_sized_stack, 0
	.set _ZN9rocsparseL29coomvn_segmented_loops_reduceILj256EiiiEEvT0_NS_24const_host_device_scalarIT2_EEPKS1_PKS3_PT1_b.has_recursion, 0
	.set _ZN9rocsparseL29coomvn_segmented_loops_reduceILj256EiiiEEvT0_NS_24const_host_device_scalarIT2_EEPKS1_PKS3_PT1_b.has_indirect_call, 0
	.section	.AMDGPU.csdata,"",@progbits
; Kernel info:
; codeLenInByte = 1592
; TotalNumSgprs: 21
; NumVgprs: 23
; ScratchSize: 0
; MemoryBound: 0
; FloatMode: 240
; IeeeMode: 1
; LDSByteSize: 2048 bytes/workgroup (compile time only)
; SGPRBlocks: 0
; VGPRBlocks: 1
; NumSGPRsForWavesPerEU: 21
; NumVGPRsForWavesPerEU: 23
; NamedBarCnt: 0
; Occupancy: 16
; WaveLimiterHint : 0
; COMPUTE_PGM_RSRC2:SCRATCH_EN: 0
; COMPUTE_PGM_RSRC2:USER_SGPR: 2
; COMPUTE_PGM_RSRC2:TRAP_HANDLER: 0
; COMPUTE_PGM_RSRC2:TGID_X_EN: 1
; COMPUTE_PGM_RSRC2:TGID_Y_EN: 0
; COMPUTE_PGM_RSRC2:TGID_Z_EN: 0
; COMPUTE_PGM_RSRC2:TIDIG_COMP_CNT: 0
	.section	.text._ZN9rocsparseL23coomvn_aos_atomic_loopsILj256ELj1ElaaiiEEvlNS_24const_host_device_scalarIT5_EEPKT1_PKT2_PKT3_PT4_21rocsparse_index_base_b,"axG",@progbits,_ZN9rocsparseL23coomvn_aos_atomic_loopsILj256ELj1ElaaiiEEvlNS_24const_host_device_scalarIT5_EEPKT1_PKT2_PKT3_PT4_21rocsparse_index_base_b,comdat
	.globl	_ZN9rocsparseL23coomvn_aos_atomic_loopsILj256ELj1ElaaiiEEvlNS_24const_host_device_scalarIT5_EEPKT1_PKT2_PKT3_PT4_21rocsparse_index_base_b ; -- Begin function _ZN9rocsparseL23coomvn_aos_atomic_loopsILj256ELj1ElaaiiEEvlNS_24const_host_device_scalarIT5_EEPKT1_PKT2_PKT3_PT4_21rocsparse_index_base_b
	.p2align	8
	.type	_ZN9rocsparseL23coomvn_aos_atomic_loopsILj256ELj1ElaaiiEEvlNS_24const_host_device_scalarIT5_EEPKT1_PKT2_PKT3_PT4_21rocsparse_index_base_b,@function
_ZN9rocsparseL23coomvn_aos_atomic_loopsILj256ELj1ElaaiiEEvlNS_24const_host_device_scalarIT5_EEPKT1_PKT2_PKT3_PT4_21rocsparse_index_base_b: ; @_ZN9rocsparseL23coomvn_aos_atomic_loopsILj256ELj1ElaaiiEEvlNS_24const_host_device_scalarIT5_EEPKT1_PKT2_PKT3_PT4_21rocsparse_index_base_b
; %bb.0:
	s_clause 0x1
	s_load_b64 s[2:3], s[0:1], 0x30
	s_load_b128 s[4:7], s[0:1], 0x0
	s_wait_kmcnt 0x0
	s_bitcmp0_b32 s3, 0
	s_mov_b32 s3, 0
	s_cbranch_scc0 .LBB36_2
; %bb.1:
	s_load_b32 s7, s[6:7], 0x0
	s_and_not1_b32 vcc_lo, exec_lo, s3
	s_cbranch_vccz .LBB36_3
	s_branch .LBB36_4
.LBB36_2:
                                        ; implicit-def: $sgpr7
.LBB36_3:
	s_wait_kmcnt 0x0
	s_mov_b32 s7, s6
.LBB36_4:
	s_wait_kmcnt 0x0
	s_cmp_eq_u32 s7, 0
	s_cbranch_scc1 .LBB36_44
; %bb.5:
	s_bfe_u32 s3, ttmp6, 0x4000c
	s_and_b32 s6, ttmp6, 15
	s_add_co_i32 s3, s3, 1
	s_getreg_b32 s8, hwreg(HW_REG_IB_STS2, 6, 4)
	s_mul_i32 s3, ttmp9, s3
	v_mov_b32_e32 v3, 0
	s_add_co_i32 s6, s6, s3
	s_cmp_eq_u32 s8, 0
	v_mov_b64_e32 v[4:5], -1
	s_cselect_b32 s3, ttmp9, s6
	s_delay_alu instid0(SALU_CYCLE_1) | instskip(NEXT) | instid1(VALU_DEP_1)
	v_lshl_or_b32 v2, s3, 8, v0
	v_cmp_gt_i64_e32 vcc_lo, s[4:5], v[2:3]
	s_and_saveexec_b32 s4, vcc_lo
	s_cbranch_execz .LBB36_7
; %bb.6:
	s_clause 0x1
	s_load_b128 s[8:11], s[0:1], 0x10
	s_load_b64 s[12:13], s[0:1], 0x20
	s_mov_b32 s3, 0
	s_wait_kmcnt 0x0
	v_lshl_add_u64 v[4:5], v[2:3], 4, s[8:9]
	v_add_nc_u64_e32 v[2:3], s[10:11], v[2:3]
	global_load_b128 v[4:7], v[4:5], off th:TH_LOAD_NT
	s_wait_loadcnt 0x0
	v_sub_nc_u64_e64 v[6:7], v[6:7], s[2:3]
	v_sub_nc_u64_e64 v[4:5], v[4:5], s[2:3]
	s_delay_alu instid0(VALU_DEP_2)
	v_add_nc_u64_e32 v[6:7], s[12:13], v[6:7]
	global_load_i8 v1, v[2:3], off th:TH_LOAD_NT
	global_load_i8 v8, v[6:7], off
	s_wait_loadcnt 0x0
	v_mul_i32_i24_e32 v3, v8, v1
.LBB36_7:
	s_or_b32 exec_lo, exec_lo, s4
	v_dual_lshlrev_b32 v6, 2, v0 :: v_dual_lshlrev_b32 v1, 3, v0
	s_mov_b32 s2, exec_lo
	ds_store_b64 v1, v[4:5]
	ds_store_b32 v6, v3 offset:2048
	v_or_b32_e32 v2, 0x800, v6
	s_wait_dscnt 0x0
	s_barrier_signal -1
	s_barrier_wait -1
	v_cmpx_ne_u32_e32 0, v0
	s_cbranch_execz .LBB36_11
; %bb.8:
	v_add_nc_u32_e32 v6, -8, v1
	s_mov_b32 s3, exec_lo
	ds_load_b64 v[6:7], v6
	s_wait_dscnt 0x0
	v_cmpx_eq_u64_e64 v[4:5], v[6:7]
	s_cbranch_execz .LBB36_10
; %bb.9:
	v_add_nc_u32_e32 v6, -4, v2
	ds_load_b32 v6, v6
	s_wait_dscnt 0x0
	v_add_nc_u32_e32 v3, v6, v3
.LBB36_10:
	s_or_b32 exec_lo, exec_lo, s3
.LBB36_11:
	s_delay_alu instid0(SALU_CYCLE_1) | instskip(NEXT) | instid1(SALU_CYCLE_1)
	s_or_b32 exec_lo, exec_lo, s2
	s_mov_b32 s2, exec_lo
	s_barrier_signal -1
	s_barrier_wait -1
	ds_store_b32 v2, v3
	s_wait_dscnt 0x0
	s_barrier_signal -1
	s_barrier_wait -1
	v_cmpx_lt_u32_e32 1, v0
	s_cbranch_execz .LBB36_15
; %bb.12:
	v_add_nc_u32_e32 v6, -16, v1
	s_mov_b32 s3, exec_lo
	ds_load_b64 v[6:7], v6
	s_wait_dscnt 0x0
	v_cmpx_eq_u64_e64 v[4:5], v[6:7]
	s_cbranch_execz .LBB36_14
; %bb.13:
	v_add_nc_u32_e32 v6, -8, v2
	ds_load_b32 v6, v6
	s_wait_dscnt 0x0
	v_add_nc_u32_e32 v3, v6, v3
.LBB36_14:
	s_or_b32 exec_lo, exec_lo, s3
.LBB36_15:
	s_delay_alu instid0(SALU_CYCLE_1) | instskip(NEXT) | instid1(SALU_CYCLE_1)
	s_or_b32 exec_lo, exec_lo, s2
	s_mov_b32 s2, exec_lo
	s_barrier_signal -1
	s_barrier_wait -1
	ds_store_b32 v2, v3
	s_wait_dscnt 0x0
	s_barrier_signal -1
	s_barrier_wait -1
	v_cmpx_lt_u32_e32 3, v0
	s_cbranch_execz .LBB36_19
; %bb.16:
	v_subrev_nc_u32_e32 v6, 32, v1
	s_mov_b32 s3, exec_lo
	ds_load_b64 v[6:7], v6
	s_wait_dscnt 0x0
	v_cmpx_eq_u64_e64 v[4:5], v[6:7]
	s_cbranch_execz .LBB36_18
; %bb.17:
	v_add_nc_u32_e32 v6, -16, v2
	ds_load_b32 v6, v6
	s_wait_dscnt 0x0
	v_add_nc_u32_e32 v3, v6, v3
.LBB36_18:
	s_or_b32 exec_lo, exec_lo, s3
.LBB36_19:
	s_delay_alu instid0(SALU_CYCLE_1) | instskip(NEXT) | instid1(SALU_CYCLE_1)
	s_or_b32 exec_lo, exec_lo, s2
	s_mov_b32 s2, exec_lo
	s_barrier_signal -1
	s_barrier_wait -1
	ds_store_b32 v2, v3
	s_wait_dscnt 0x0
	s_barrier_signal -1
	s_barrier_wait -1
	v_cmpx_lt_u32_e32 7, v0
	s_cbranch_execz .LBB36_23
; %bb.20:
	v_subrev_nc_u32_e32 v6, 64, v1
	s_mov_b32 s3, exec_lo
	ds_load_b64 v[6:7], v6
	s_wait_dscnt 0x0
	v_cmpx_eq_u64_e64 v[4:5], v[6:7]
	s_cbranch_execz .LBB36_22
; %bb.21:
	v_subrev_nc_u32_e32 v6, 32, v2
	ds_load_b32 v6, v6
	s_wait_dscnt 0x0
	v_add_nc_u32_e32 v3, v6, v3
.LBB36_22:
	s_or_b32 exec_lo, exec_lo, s3
.LBB36_23:
	s_delay_alu instid0(SALU_CYCLE_1) | instskip(NEXT) | instid1(SALU_CYCLE_1)
	s_or_b32 exec_lo, exec_lo, s2
	s_mov_b32 s2, exec_lo
	s_barrier_signal -1
	s_barrier_wait -1
	ds_store_b32 v2, v3
	s_wait_dscnt 0x0
	s_barrier_signal -1
	s_barrier_wait -1
	v_cmpx_lt_u32_e32 15, v0
	s_cbranch_execz .LBB36_27
; %bb.24:
	v_add_nc_u32_e32 v6, 0xffffff80, v1
	s_mov_b32 s3, exec_lo
	ds_load_b64 v[6:7], v6
	s_wait_dscnt 0x0
	v_cmpx_eq_u64_e64 v[4:5], v[6:7]
	s_cbranch_execz .LBB36_26
; %bb.25:
	v_subrev_nc_u32_e32 v6, 64, v2
	ds_load_b32 v6, v6
	s_wait_dscnt 0x0
	v_add_nc_u32_e32 v3, v6, v3
.LBB36_26:
	s_or_b32 exec_lo, exec_lo, s3
.LBB36_27:
	s_delay_alu instid0(SALU_CYCLE_1) | instskip(NEXT) | instid1(SALU_CYCLE_1)
	s_or_b32 exec_lo, exec_lo, s2
	s_mov_b32 s2, exec_lo
	s_barrier_signal -1
	s_barrier_wait -1
	ds_store_b32 v2, v3
	s_wait_dscnt 0x0
	s_barrier_signal -1
	s_barrier_wait -1
	v_cmpx_lt_u32_e32 31, v0
	s_cbranch_execz .LBB36_31
; %bb.28:
	v_add_nc_u32_e32 v6, 0xffffff00, v1
	s_mov_b32 s3, exec_lo
	ds_load_b64 v[6:7], v6
	s_wait_dscnt 0x0
	v_cmpx_eq_u64_e64 v[4:5], v[6:7]
	s_cbranch_execz .LBB36_30
; %bb.29:
	v_add_nc_u32_e32 v6, 0xffffff80, v2
	ds_load_b32 v6, v6
	s_wait_dscnt 0x0
	v_add_nc_u32_e32 v3, v6, v3
.LBB36_30:
	s_or_b32 exec_lo, exec_lo, s3
.LBB36_31:
	s_delay_alu instid0(SALU_CYCLE_1) | instskip(NEXT) | instid1(SALU_CYCLE_1)
	s_or_b32 exec_lo, exec_lo, s2
	s_mov_b32 s2, exec_lo
	s_barrier_signal -1
	s_barrier_wait -1
	ds_store_b32 v2, v3
	s_wait_dscnt 0x0
	s_barrier_signal -1
	s_barrier_wait -1
	v_cmpx_lt_u32_e32 63, v0
	s_cbranch_execz .LBB36_35
; %bb.32:
	v_add_nc_u32_e32 v6, 0xfffffe00, v1
	s_mov_b32 s3, exec_lo
	ds_load_b64 v[6:7], v6
	s_wait_dscnt 0x0
	v_cmpx_eq_u64_e64 v[4:5], v[6:7]
	s_cbranch_execz .LBB36_34
; %bb.33:
	v_add_nc_u32_e32 v6, 0xffffff00, v2
	ds_load_b32 v6, v6
	s_wait_dscnt 0x0
	v_add_nc_u32_e32 v3, v6, v3
.LBB36_34:
	s_or_b32 exec_lo, exec_lo, s3
.LBB36_35:
	;; [unrolled: 26-line block ×3, first 2 shown]
	s_delay_alu instid0(SALU_CYCLE_1)
	s_or_b32 exec_lo, exec_lo, s2
	s_load_b64 s[2:3], s[0:1], 0x28
	s_wait_xcnt 0x0
	s_mov_b32 s1, exec_lo
	s_barrier_signal -1
	s_barrier_wait -1
	ds_store_b32 v2, v3
	s_wait_dscnt 0x0
	s_barrier_signal -1
	s_barrier_wait -1
	v_cmpx_gt_u32_e32 0xff, v0
	s_cbranch_execz .LBB36_42
; %bb.40:
	ds_load_b64 v[6:7], v1 offset:8
	v_cmp_lt_i64_e64 s0, -1, v[4:5]
	s_wait_dscnt 0x0
	v_cmp_ne_u64_e32 vcc_lo, v[4:5], v[6:7]
	s_and_b32 s0, s0, vcc_lo
	s_delay_alu instid0(SALU_CYCLE_1)
	s_and_b32 exec_lo, exec_lo, s0
	s_cbranch_execz .LBB36_42
; %bb.41:
	v_mul_lo_u32 v1, v3, s7
	s_wait_kmcnt 0x0
	v_lshl_add_u64 v[6:7], v[4:5], 2, s[2:3]
	global_atomic_add_u32 v[6:7], v1, off scope:SCOPE_DEV
.LBB36_42:
	s_wait_xcnt 0x0
	s_or_b32 exec_lo, exec_lo, s1
	v_cmp_lt_i64_e32 vcc_lo, -1, v[4:5]
	v_cmp_eq_u32_e64 s0, 0xff, v0
	s_and_b32 s0, s0, vcc_lo
	s_delay_alu instid0(SALU_CYCLE_1)
	s_and_saveexec_b32 s1, s0
	s_cbranch_execz .LBB36_44
; %bb.43:
	v_mul_lo_u32 v2, v3, s7
	s_wait_kmcnt 0x0
	v_lshl_add_u64 v[0:1], v[4:5], 2, s[2:3]
	global_atomic_add_u32 v[0:1], v2, off scope:SCOPE_DEV
.LBB36_44:
	s_endpgm
	.section	.rodata,"a",@progbits
	.p2align	6, 0x0
	.amdhsa_kernel _ZN9rocsparseL23coomvn_aos_atomic_loopsILj256ELj1ElaaiiEEvlNS_24const_host_device_scalarIT5_EEPKT1_PKT2_PKT3_PT4_21rocsparse_index_base_b
		.amdhsa_group_segment_fixed_size 3072
		.amdhsa_private_segment_fixed_size 0
		.amdhsa_kernarg_size 56
		.amdhsa_user_sgpr_count 2
		.amdhsa_user_sgpr_dispatch_ptr 0
		.amdhsa_user_sgpr_queue_ptr 0
		.amdhsa_user_sgpr_kernarg_segment_ptr 1
		.amdhsa_user_sgpr_dispatch_id 0
		.amdhsa_user_sgpr_kernarg_preload_length 0
		.amdhsa_user_sgpr_kernarg_preload_offset 0
		.amdhsa_user_sgpr_private_segment_size 0
		.amdhsa_wavefront_size32 1
		.amdhsa_uses_dynamic_stack 0
		.amdhsa_enable_private_segment 0
		.amdhsa_system_sgpr_workgroup_id_x 1
		.amdhsa_system_sgpr_workgroup_id_y 0
		.amdhsa_system_sgpr_workgroup_id_z 0
		.amdhsa_system_sgpr_workgroup_info 0
		.amdhsa_system_vgpr_workitem_id 0
		.amdhsa_next_free_vgpr 9
		.amdhsa_next_free_sgpr 14
		.amdhsa_named_barrier_count 0
		.amdhsa_reserve_vcc 1
		.amdhsa_float_round_mode_32 0
		.amdhsa_float_round_mode_16_64 0
		.amdhsa_float_denorm_mode_32 3
		.amdhsa_float_denorm_mode_16_64 3
		.amdhsa_fp16_overflow 0
		.amdhsa_memory_ordered 1
		.amdhsa_forward_progress 1
		.amdhsa_inst_pref_size 11
		.amdhsa_round_robin_scheduling 0
		.amdhsa_exception_fp_ieee_invalid_op 0
		.amdhsa_exception_fp_denorm_src 0
		.amdhsa_exception_fp_ieee_div_zero 0
		.amdhsa_exception_fp_ieee_overflow 0
		.amdhsa_exception_fp_ieee_underflow 0
		.amdhsa_exception_fp_ieee_inexact 0
		.amdhsa_exception_int_div_zero 0
	.end_amdhsa_kernel
	.section	.text._ZN9rocsparseL23coomvn_aos_atomic_loopsILj256ELj1ElaaiiEEvlNS_24const_host_device_scalarIT5_EEPKT1_PKT2_PKT3_PT4_21rocsparse_index_base_b,"axG",@progbits,_ZN9rocsparseL23coomvn_aos_atomic_loopsILj256ELj1ElaaiiEEvlNS_24const_host_device_scalarIT5_EEPKT1_PKT2_PKT3_PT4_21rocsparse_index_base_b,comdat
.Lfunc_end36:
	.size	_ZN9rocsparseL23coomvn_aos_atomic_loopsILj256ELj1ElaaiiEEvlNS_24const_host_device_scalarIT5_EEPKT1_PKT2_PKT3_PT4_21rocsparse_index_base_b, .Lfunc_end36-_ZN9rocsparseL23coomvn_aos_atomic_loopsILj256ELj1ElaaiiEEvlNS_24const_host_device_scalarIT5_EEPKT1_PKT2_PKT3_PT4_21rocsparse_index_base_b
                                        ; -- End function
	.set _ZN9rocsparseL23coomvn_aos_atomic_loopsILj256ELj1ElaaiiEEvlNS_24const_host_device_scalarIT5_EEPKT1_PKT2_PKT3_PT4_21rocsparse_index_base_b.num_vgpr, 9
	.set _ZN9rocsparseL23coomvn_aos_atomic_loopsILj256ELj1ElaaiiEEvlNS_24const_host_device_scalarIT5_EEPKT1_PKT2_PKT3_PT4_21rocsparse_index_base_b.num_agpr, 0
	.set _ZN9rocsparseL23coomvn_aos_atomic_loopsILj256ELj1ElaaiiEEvlNS_24const_host_device_scalarIT5_EEPKT1_PKT2_PKT3_PT4_21rocsparse_index_base_b.numbered_sgpr, 14
	.set _ZN9rocsparseL23coomvn_aos_atomic_loopsILj256ELj1ElaaiiEEvlNS_24const_host_device_scalarIT5_EEPKT1_PKT2_PKT3_PT4_21rocsparse_index_base_b.num_named_barrier, 0
	.set _ZN9rocsparseL23coomvn_aos_atomic_loopsILj256ELj1ElaaiiEEvlNS_24const_host_device_scalarIT5_EEPKT1_PKT2_PKT3_PT4_21rocsparse_index_base_b.private_seg_size, 0
	.set _ZN9rocsparseL23coomvn_aos_atomic_loopsILj256ELj1ElaaiiEEvlNS_24const_host_device_scalarIT5_EEPKT1_PKT2_PKT3_PT4_21rocsparse_index_base_b.uses_vcc, 1
	.set _ZN9rocsparseL23coomvn_aos_atomic_loopsILj256ELj1ElaaiiEEvlNS_24const_host_device_scalarIT5_EEPKT1_PKT2_PKT3_PT4_21rocsparse_index_base_b.uses_flat_scratch, 0
	.set _ZN9rocsparseL23coomvn_aos_atomic_loopsILj256ELj1ElaaiiEEvlNS_24const_host_device_scalarIT5_EEPKT1_PKT2_PKT3_PT4_21rocsparse_index_base_b.has_dyn_sized_stack, 0
	.set _ZN9rocsparseL23coomvn_aos_atomic_loopsILj256ELj1ElaaiiEEvlNS_24const_host_device_scalarIT5_EEPKT1_PKT2_PKT3_PT4_21rocsparse_index_base_b.has_recursion, 0
	.set _ZN9rocsparseL23coomvn_aos_atomic_loopsILj256ELj1ElaaiiEEvlNS_24const_host_device_scalarIT5_EEPKT1_PKT2_PKT3_PT4_21rocsparse_index_base_b.has_indirect_call, 0
	.section	.AMDGPU.csdata,"",@progbits
; Kernel info:
; codeLenInByte = 1348
; TotalNumSgprs: 16
; NumVgprs: 9
; ScratchSize: 0
; MemoryBound: 0
; FloatMode: 240
; IeeeMode: 1
; LDSByteSize: 3072 bytes/workgroup (compile time only)
; SGPRBlocks: 0
; VGPRBlocks: 0
; NumSGPRsForWavesPerEU: 16
; NumVGPRsForWavesPerEU: 9
; NamedBarCnt: 0
; Occupancy: 16
; WaveLimiterHint : 1
; COMPUTE_PGM_RSRC2:SCRATCH_EN: 0
; COMPUTE_PGM_RSRC2:USER_SGPR: 2
; COMPUTE_PGM_RSRC2:TRAP_HANDLER: 0
; COMPUTE_PGM_RSRC2:TGID_X_EN: 1
; COMPUTE_PGM_RSRC2:TGID_Y_EN: 0
; COMPUTE_PGM_RSRC2:TGID_Z_EN: 0
; COMPUTE_PGM_RSRC2:TIDIG_COMP_CNT: 0
	.section	.text._ZN9rocsparseL17coomvt_aos_kernelILj1024ElaaiiEEv20rocsparse_operation_lNS_24const_host_device_scalarIT4_EEPKT0_PKT1_PKT2_PT3_21rocsparse_index_base_b,"axG",@progbits,_ZN9rocsparseL17coomvt_aos_kernelILj1024ElaaiiEEv20rocsparse_operation_lNS_24const_host_device_scalarIT4_EEPKT0_PKT1_PKT2_PT3_21rocsparse_index_base_b,comdat
	.globl	_ZN9rocsparseL17coomvt_aos_kernelILj1024ElaaiiEEv20rocsparse_operation_lNS_24const_host_device_scalarIT4_EEPKT0_PKT1_PKT2_PT3_21rocsparse_index_base_b ; -- Begin function _ZN9rocsparseL17coomvt_aos_kernelILj1024ElaaiiEEv20rocsparse_operation_lNS_24const_host_device_scalarIT4_EEPKT0_PKT1_PKT2_PT3_21rocsparse_index_base_b
	.p2align	8
	.type	_ZN9rocsparseL17coomvt_aos_kernelILj1024ElaaiiEEv20rocsparse_operation_lNS_24const_host_device_scalarIT4_EEPKT0_PKT1_PKT2_PT3_21rocsparse_index_base_b,@function
_ZN9rocsparseL17coomvt_aos_kernelILj1024ElaaiiEEv20rocsparse_operation_lNS_24const_host_device_scalarIT4_EEPKT0_PKT1_PKT2_PT3_21rocsparse_index_base_b: ; @_ZN9rocsparseL17coomvt_aos_kernelILj1024ElaaiiEEv20rocsparse_operation_lNS_24const_host_device_scalarIT4_EEPKT0_PKT1_PKT2_PT3_21rocsparse_index_base_b
; %bb.0:
	s_clause 0x1
	s_load_b64 s[2:3], s[0:1], 0x38
	s_load_b128 s[4:7], s[0:1], 0x8
	s_wait_kmcnt 0x0
	s_bitcmp0_b32 s3, 0
	s_mov_b32 s3, 0
	s_cbranch_scc0 .LBB37_2
; %bb.1:
	s_load_b32 s7, s[6:7], 0x0
	s_and_not1_b32 vcc_lo, exec_lo, s3
	s_cbranch_vccz .LBB37_3
	s_branch .LBB37_4
.LBB37_2:
                                        ; implicit-def: $sgpr7
.LBB37_3:
	s_wait_kmcnt 0x0
	s_mov_b32 s7, s6
.LBB37_4:
	s_wait_kmcnt 0x0
	s_cmp_eq_u32 s7, 0
	s_cbranch_scc1 .LBB37_7
; %bb.5:
	s_load_b32 s3, s[0:1], 0x4c
	s_bfe_u32 s6, ttmp6, 0x4000c
	s_and_b32 s8, ttmp6, 15
	s_add_co_i32 s6, s6, 1
	s_getreg_b32 s9, hwreg(HW_REG_IB_STS2, 6, 4)
	s_mul_i32 s6, ttmp9, s6
	v_mov_b32_e32 v1, 0
	s_add_co_i32 s8, s8, s6
	s_wait_kmcnt 0x0
	s_and_b32 s3, s3, 0xffff
	s_cmp_eq_u32 s9, 0
	s_cselect_b32 s6, ttmp9, s8
	s_delay_alu instid0(SALU_CYCLE_1) | instskip(SKIP_1) | instid1(VALU_DEP_1)
	v_mad_u32 v0, s6, s3, v0
	s_mov_b32 s3, exec_lo
	v_cmpx_gt_i64_e64 s[4:5], v[0:1]
	s_cbranch_execz .LBB37_7
; %bb.6:
	s_load_b256 s[8:15], s[0:1], 0x18
	s_mov_b32 s3, 0
	s_wait_kmcnt 0x0
	v_lshl_add_u64 v[2:3], v[0:1], 4, s[8:9]
	v_add_nc_u64_e32 v[0:1], s[10:11], v[0:1]
	global_load_b128 v[2:5], v[2:3], off
	global_load_i8 v6, v[0:1], off
	s_wait_loadcnt 0x1
	s_wait_xcnt 0x1
	v_sub_nc_u64_e64 v[2:3], v[2:3], s[2:3]
	s_wait_xcnt 0x0
	s_delay_alu instid0(VALU_DEP_1)
	v_add_nc_u64_e32 v[0:1], s[12:13], v[2:3]
	s_wait_loadcnt 0x0
	v_mul_lo_u32 v3, s7, v6
	global_load_i8 v2, v[0:1], off
	s_wait_xcnt 0x0
	v_sub_nc_u64_e64 v[0:1], v[4:5], s[2:3]
	s_delay_alu instid0(VALU_DEP_1)
	v_lshl_add_u64 v[0:1], v[0:1], 2, s[14:15]
	s_wait_loadcnt 0x0
	v_mul_lo_u32 v2, v3, v2
	global_atomic_add_u32 v[0:1], v2, off scope:SCOPE_DEV
.LBB37_7:
	s_endpgm
	.section	.rodata,"a",@progbits
	.p2align	6, 0x0
	.amdhsa_kernel _ZN9rocsparseL17coomvt_aos_kernelILj1024ElaaiiEEv20rocsparse_operation_lNS_24const_host_device_scalarIT4_EEPKT0_PKT1_PKT2_PT3_21rocsparse_index_base_b
		.amdhsa_group_segment_fixed_size 0
		.amdhsa_private_segment_fixed_size 0
		.amdhsa_kernarg_size 320
		.amdhsa_user_sgpr_count 2
		.amdhsa_user_sgpr_dispatch_ptr 0
		.amdhsa_user_sgpr_queue_ptr 0
		.amdhsa_user_sgpr_kernarg_segment_ptr 1
		.amdhsa_user_sgpr_dispatch_id 0
		.amdhsa_user_sgpr_kernarg_preload_length 0
		.amdhsa_user_sgpr_kernarg_preload_offset 0
		.amdhsa_user_sgpr_private_segment_size 0
		.amdhsa_wavefront_size32 1
		.amdhsa_uses_dynamic_stack 0
		.amdhsa_enable_private_segment 0
		.amdhsa_system_sgpr_workgroup_id_x 1
		.amdhsa_system_sgpr_workgroup_id_y 0
		.amdhsa_system_sgpr_workgroup_id_z 0
		.amdhsa_system_sgpr_workgroup_info 0
		.amdhsa_system_vgpr_workitem_id 0
		.amdhsa_next_free_vgpr 7
		.amdhsa_next_free_sgpr 16
		.amdhsa_named_barrier_count 0
		.amdhsa_reserve_vcc 1
		.amdhsa_float_round_mode_32 0
		.amdhsa_float_round_mode_16_64 0
		.amdhsa_float_denorm_mode_32 3
		.amdhsa_float_denorm_mode_16_64 3
		.amdhsa_fp16_overflow 0
		.amdhsa_memory_ordered 1
		.amdhsa_forward_progress 1
		.amdhsa_inst_pref_size 3
		.amdhsa_round_robin_scheduling 0
		.amdhsa_exception_fp_ieee_invalid_op 0
		.amdhsa_exception_fp_denorm_src 0
		.amdhsa_exception_fp_ieee_div_zero 0
		.amdhsa_exception_fp_ieee_overflow 0
		.amdhsa_exception_fp_ieee_underflow 0
		.amdhsa_exception_fp_ieee_inexact 0
		.amdhsa_exception_int_div_zero 0
	.end_amdhsa_kernel
	.section	.text._ZN9rocsparseL17coomvt_aos_kernelILj1024ElaaiiEEv20rocsparse_operation_lNS_24const_host_device_scalarIT4_EEPKT0_PKT1_PKT2_PT3_21rocsparse_index_base_b,"axG",@progbits,_ZN9rocsparseL17coomvt_aos_kernelILj1024ElaaiiEEv20rocsparse_operation_lNS_24const_host_device_scalarIT4_EEPKT0_PKT1_PKT2_PT3_21rocsparse_index_base_b,comdat
.Lfunc_end37:
	.size	_ZN9rocsparseL17coomvt_aos_kernelILj1024ElaaiiEEv20rocsparse_operation_lNS_24const_host_device_scalarIT4_EEPKT0_PKT1_PKT2_PT3_21rocsparse_index_base_b, .Lfunc_end37-_ZN9rocsparseL17coomvt_aos_kernelILj1024ElaaiiEEv20rocsparse_operation_lNS_24const_host_device_scalarIT4_EEPKT0_PKT1_PKT2_PT3_21rocsparse_index_base_b
                                        ; -- End function
	.set _ZN9rocsparseL17coomvt_aos_kernelILj1024ElaaiiEEv20rocsparse_operation_lNS_24const_host_device_scalarIT4_EEPKT0_PKT1_PKT2_PT3_21rocsparse_index_base_b.num_vgpr, 7
	.set _ZN9rocsparseL17coomvt_aos_kernelILj1024ElaaiiEEv20rocsparse_operation_lNS_24const_host_device_scalarIT4_EEPKT0_PKT1_PKT2_PT3_21rocsparse_index_base_b.num_agpr, 0
	.set _ZN9rocsparseL17coomvt_aos_kernelILj1024ElaaiiEEv20rocsparse_operation_lNS_24const_host_device_scalarIT4_EEPKT0_PKT1_PKT2_PT3_21rocsparse_index_base_b.numbered_sgpr, 16
	.set _ZN9rocsparseL17coomvt_aos_kernelILj1024ElaaiiEEv20rocsparse_operation_lNS_24const_host_device_scalarIT4_EEPKT0_PKT1_PKT2_PT3_21rocsparse_index_base_b.num_named_barrier, 0
	.set _ZN9rocsparseL17coomvt_aos_kernelILj1024ElaaiiEEv20rocsparse_operation_lNS_24const_host_device_scalarIT4_EEPKT0_PKT1_PKT2_PT3_21rocsparse_index_base_b.private_seg_size, 0
	.set _ZN9rocsparseL17coomvt_aos_kernelILj1024ElaaiiEEv20rocsparse_operation_lNS_24const_host_device_scalarIT4_EEPKT0_PKT1_PKT2_PT3_21rocsparse_index_base_b.uses_vcc, 1
	.set _ZN9rocsparseL17coomvt_aos_kernelILj1024ElaaiiEEv20rocsparse_operation_lNS_24const_host_device_scalarIT4_EEPKT0_PKT1_PKT2_PT3_21rocsparse_index_base_b.uses_flat_scratch, 0
	.set _ZN9rocsparseL17coomvt_aos_kernelILj1024ElaaiiEEv20rocsparse_operation_lNS_24const_host_device_scalarIT4_EEPKT0_PKT1_PKT2_PT3_21rocsparse_index_base_b.has_dyn_sized_stack, 0
	.set _ZN9rocsparseL17coomvt_aos_kernelILj1024ElaaiiEEv20rocsparse_operation_lNS_24const_host_device_scalarIT4_EEPKT0_PKT1_PKT2_PT3_21rocsparse_index_base_b.has_recursion, 0
	.set _ZN9rocsparseL17coomvt_aos_kernelILj1024ElaaiiEEv20rocsparse_operation_lNS_24const_host_device_scalarIT4_EEPKT0_PKT1_PKT2_PT3_21rocsparse_index_base_b.has_indirect_call, 0
	.section	.AMDGPU.csdata,"",@progbits
; Kernel info:
; codeLenInByte = 320
; TotalNumSgprs: 18
; NumVgprs: 7
; ScratchSize: 0
; MemoryBound: 0
; FloatMode: 240
; IeeeMode: 1
; LDSByteSize: 0 bytes/workgroup (compile time only)
; SGPRBlocks: 0
; VGPRBlocks: 0
; NumSGPRsForWavesPerEU: 18
; NumVGPRsForWavesPerEU: 7
; NamedBarCnt: 0
; Occupancy: 16
; WaveLimiterHint : 1
; COMPUTE_PGM_RSRC2:SCRATCH_EN: 0
; COMPUTE_PGM_RSRC2:USER_SGPR: 2
; COMPUTE_PGM_RSRC2:TRAP_HANDLER: 0
; COMPUTE_PGM_RSRC2:TGID_X_EN: 1
; COMPUTE_PGM_RSRC2:TGID_Y_EN: 0
; COMPUTE_PGM_RSRC2:TGID_Z_EN: 0
; COMPUTE_PGM_RSRC2:TIDIG_COMP_CNT: 0
	.section	.text._ZN9rocsparseL26coomvn_aos_segmented_loopsILj256ElaaiiEEvlT0_NS_24const_host_device_scalarIT4_EEPKS1_PKT1_PKT2_PT3_PS1_PS3_21rocsparse_index_base_b,"axG",@progbits,_ZN9rocsparseL26coomvn_aos_segmented_loopsILj256ElaaiiEEvlT0_NS_24const_host_device_scalarIT4_EEPKS1_PKT1_PKT2_PT3_PS1_PS3_21rocsparse_index_base_b,comdat
	.globl	_ZN9rocsparseL26coomvn_aos_segmented_loopsILj256ElaaiiEEvlT0_NS_24const_host_device_scalarIT4_EEPKS1_PKT1_PKT2_PT3_PS1_PS3_21rocsparse_index_base_b ; -- Begin function _ZN9rocsparseL26coomvn_aos_segmented_loopsILj256ElaaiiEEvlT0_NS_24const_host_device_scalarIT4_EEPKS1_PKT1_PKT2_PT3_PS1_PS3_21rocsparse_index_base_b
	.p2align	8
	.type	_ZN9rocsparseL26coomvn_aos_segmented_loopsILj256ElaaiiEEvlT0_NS_24const_host_device_scalarIT4_EEPKS1_PKT1_PKT2_PT3_PS1_PS3_21rocsparse_index_base_b,@function
_ZN9rocsparseL26coomvn_aos_segmented_loopsILj256ElaaiiEEvlT0_NS_24const_host_device_scalarIT4_EEPKS1_PKT1_PKT2_PT3_PS1_PS3_21rocsparse_index_base_b: ; @_ZN9rocsparseL26coomvn_aos_segmented_loopsILj256ElaaiiEEvlT0_NS_24const_host_device_scalarIT4_EEPKS1_PKT1_PKT2_PT3_PS1_PS3_21rocsparse_index_base_b
; %bb.0:
	s_clause 0x1
	s_load_b64 s[14:15], s[0:1], 0x48
	s_load_b64 s[2:3], s[0:1], 0x10
	s_mov_b32 s4, 0
	s_wait_kmcnt 0x0
	s_bitcmp0_b32 s15, 0
	s_cbranch_scc0 .LBB38_2
; %bb.1:
	s_load_b32 s13, s[2:3], 0x0
	s_and_not1_b32 vcc_lo, exec_lo, s4
	s_cbranch_vccz .LBB38_3
	s_branch .LBB38_4
.LBB38_2:
                                        ; implicit-def: $sgpr13
.LBB38_3:
	s_wait_kmcnt 0x0
	s_mov_b32 s13, s2
.LBB38_4:
	s_wait_kmcnt 0x0
	s_cmp_eq_u32 s13, 0
	s_mov_b32 s25, 0
	s_cbranch_scc1 .LBB38_91
; %bb.5:
	s_clause 0x1
	s_load_b128 s[16:19], s[0:1], 0x0
	s_load_b128 s[20:23], s[0:1], 0x18
	s_bfe_u32 s2, ttmp6, 0x4000c
	s_load_b64 s[28:29], s[0:1], 0x28
	s_add_co_i32 s2, s2, 1
	s_and_b32 s3, ttmp6, 15
	s_mul_i32 s2, ttmp9, s2
	s_getreg_b32 s4, hwreg(HW_REG_IB_STS2, 6, 4)
	s_add_co_i32 s3, s3, s2
	s_cmp_eq_u32 s4, 0
	v_mov_b64_e32 v[2:3], -1
	s_cselect_b32 s24, ttmp9, s3
	v_mov_b32_e32 v6, 0
	s_wait_kmcnt 0x0
	s_mul_u64 s[30:31], s[24:25], s[18:19]
	s_delay_alu instid0(SALU_CYCLE_1) | instskip(NEXT) | instid1(SALU_CYCLE_1)
	s_lshl_b64 s[2:3], s[30:31], 8
	v_dual_mov_b32 v5, s3 :: v_dual_bitop2_b32 v4, s2, v0 bitop3:0x54
	s_mov_b32 s2, exec_lo
	s_delay_alu instid0(VALU_DEP_1)
	v_cmpx_gt_i64_e64 s[16:17], v[4:5]
	s_cbranch_execz .LBB38_7
; %bb.6:
	v_lshl_add_u64 v[2:3], v[4:5], 4, s[20:21]
	s_mov_b32 s15, 0
	global_load_b128 v[6:9], v[2:3], off th:TH_LOAD_NT
	s_wait_loadcnt 0x0
	v_add_nc_u64_e32 v[8:9], s[28:29], v[8:9]
	v_sub_nc_u64_e64 v[2:3], v[6:7], s[14:15]
	s_ashr_i32 s15, s14, 31
	v_add_nc_u64_e32 v[6:7], s[22:23], v[4:5]
	s_sub_nc_u64 s[4:5], 0, s[14:15]
	s_delay_alu instid0(VALU_DEP_3) | instid1(SALU_CYCLE_1)
	v_add_nc_u64_e32 v[8:9], s[4:5], v[8:9]
	global_load_i8 v1, v[6:7], off th:TH_LOAD_NT
	global_load_i8 v10, v[8:9], off
	s_wait_loadcnt 0x0
	v_mul_i32_i24_e32 v6, v10, v1
.LBB38_7:
	s_or_b32 exec_lo, exec_lo, s2
	v_dual_lshlrev_b32 v7, 2, v0 :: v_dual_lshlrev_b32 v1, 3, v0
	v_cmp_eq_u32_e64 s2, 0, v0
	v_cmp_ne_u32_e64 s3, 0, v0
	ds_store_b64 v1, v[2:3]
	ds_store_b32 v7, v6 offset:2048
	v_or_b32_e32 v12, 0x800, v7
	v_add_nc_u32_e32 v13, -8, v1
	s_wait_dscnt 0x0
	s_barrier_signal -1
	s_barrier_wait -1
	s_and_saveexec_b32 s4, s3
	s_cbranch_execz .LBB38_11
; %bb.8:
	ds_load_b64 v[8:9], v13
	s_mov_b32 s5, exec_lo
	s_wait_dscnt 0x0
	v_cmpx_eq_u64_e64 v[2:3], v[8:9]
	s_cbranch_execz .LBB38_10
; %bb.9:
	v_add_nc_u32_e32 v7, -4, v12
	ds_load_b32 v7, v7
	s_wait_dscnt 0x0
	v_add_nc_u32_e32 v6, v7, v6
.LBB38_10:
	s_or_b32 exec_lo, exec_lo, s5
.LBB38_11:
	s_delay_alu instid0(SALU_CYCLE_1)
	s_or_b32 exec_lo, exec_lo, s4
	v_cmp_lt_u32_e64 s4, 1, v0
	v_add_nc_u32_e32 v14, -16, v1
	s_barrier_signal -1
	s_barrier_wait -1
	ds_store_b32 v12, v6
	s_wait_dscnt 0x0
	s_barrier_signal -1
	s_barrier_wait -1
	s_and_saveexec_b32 s5, s4
	s_cbranch_execz .LBB38_15
; %bb.12:
	ds_load_b64 v[8:9], v14
	s_mov_b32 s6, exec_lo
	s_wait_dscnt 0x0
	v_cmpx_eq_u64_e64 v[2:3], v[8:9]
	s_cbranch_execz .LBB38_14
; %bb.13:
	v_add_nc_u32_e32 v7, -8, v12
	ds_load_b32 v7, v7
	s_wait_dscnt 0x0
	v_add_nc_u32_e32 v6, v7, v6
.LBB38_14:
	s_or_b32 exec_lo, exec_lo, s6
.LBB38_15:
	s_delay_alu instid0(SALU_CYCLE_1)
	s_or_b32 exec_lo, exec_lo, s5
	v_cmp_lt_u32_e64 s5, 3, v0
	v_subrev_nc_u32_e32 v15, 32, v1
	s_barrier_signal -1
	s_barrier_wait -1
	ds_store_b32 v12, v6
	s_wait_dscnt 0x0
	s_barrier_signal -1
	s_barrier_wait -1
	s_and_saveexec_b32 s6, s5
	s_cbranch_execz .LBB38_19
; %bb.16:
	ds_load_b64 v[8:9], v15
	s_mov_b32 s7, exec_lo
	s_wait_dscnt 0x0
	v_cmpx_eq_u64_e64 v[2:3], v[8:9]
	s_cbranch_execz .LBB38_18
; %bb.17:
	v_add_nc_u32_e32 v7, -16, v12
	ds_load_b32 v7, v7
	s_wait_dscnt 0x0
	v_add_nc_u32_e32 v6, v7, v6
.LBB38_18:
	s_or_b32 exec_lo, exec_lo, s7
.LBB38_19:
	s_delay_alu instid0(SALU_CYCLE_1)
	s_or_b32 exec_lo, exec_lo, s6
	v_cmp_lt_u32_e64 s6, 7, v0
	v_subrev_nc_u32_e32 v16, 64, v1
	s_barrier_signal -1
	s_barrier_wait -1
	ds_store_b32 v12, v6
	s_wait_dscnt 0x0
	s_barrier_signal -1
	s_barrier_wait -1
	s_and_saveexec_b32 s7, s6
	s_cbranch_execz .LBB38_23
; %bb.20:
	ds_load_b64 v[8:9], v16
	s_mov_b32 s8, exec_lo
	s_wait_dscnt 0x0
	v_cmpx_eq_u64_e64 v[2:3], v[8:9]
	s_cbranch_execz .LBB38_22
; %bb.21:
	v_subrev_nc_u32_e32 v7, 32, v12
	ds_load_b32 v7, v7
	s_wait_dscnt 0x0
	v_add_nc_u32_e32 v6, v7, v6
.LBB38_22:
	s_or_b32 exec_lo, exec_lo, s8
.LBB38_23:
	s_delay_alu instid0(SALU_CYCLE_1)
	s_or_b32 exec_lo, exec_lo, s7
	v_cmp_lt_u32_e64 s7, 15, v0
	v_add_nc_u32_e32 v17, 0xffffff80, v1
	s_barrier_signal -1
	s_barrier_wait -1
	ds_store_b32 v12, v6
	s_wait_dscnt 0x0
	s_barrier_signal -1
	s_barrier_wait -1
	s_and_saveexec_b32 s8, s7
	s_cbranch_execz .LBB38_27
; %bb.24:
	ds_load_b64 v[8:9], v17
	s_mov_b32 s9, exec_lo
	s_wait_dscnt 0x0
	v_cmpx_eq_u64_e64 v[2:3], v[8:9]
	s_cbranch_execz .LBB38_26
; %bb.25:
	v_subrev_nc_u32_e32 v7, 64, v12
	ds_load_b32 v7, v7
	s_wait_dscnt 0x0
	v_add_nc_u32_e32 v6, v7, v6
.LBB38_26:
	s_or_b32 exec_lo, exec_lo, s9
.LBB38_27:
	s_delay_alu instid0(SALU_CYCLE_1)
	s_or_b32 exec_lo, exec_lo, s8
	v_cmp_lt_u32_e64 s8, 31, v0
	v_add_nc_u32_e32 v18, 0xffffff00, v1
	s_barrier_signal -1
	s_barrier_wait -1
	ds_store_b32 v12, v6
	s_wait_dscnt 0x0
	s_barrier_signal -1
	s_barrier_wait -1
	s_and_saveexec_b32 s9, s8
	s_cbranch_execz .LBB38_31
; %bb.28:
	ds_load_b64 v[8:9], v18
	s_mov_b32 s10, exec_lo
	s_wait_dscnt 0x0
	v_cmpx_eq_u64_e64 v[2:3], v[8:9]
	s_cbranch_execz .LBB38_30
; %bb.29:
	v_add_nc_u32_e32 v7, 0xffffff80, v12
	ds_load_b32 v7, v7
	s_wait_dscnt 0x0
	v_add_nc_u32_e32 v6, v7, v6
.LBB38_30:
	s_or_b32 exec_lo, exec_lo, s10
.LBB38_31:
	s_delay_alu instid0(SALU_CYCLE_1)
	s_or_b32 exec_lo, exec_lo, s9
	v_cmp_lt_u32_e64 s9, 63, v0
	v_add_nc_u32_e32 v19, 0xfffffe00, v1
	s_barrier_signal -1
	s_barrier_wait -1
	ds_store_b32 v12, v6
	s_wait_dscnt 0x0
	s_barrier_signal -1
	s_barrier_wait -1
	s_and_saveexec_b32 s10, s9
	s_cbranch_execz .LBB38_35
; %bb.32:
	ds_load_b64 v[8:9], v19
	s_mov_b32 s11, exec_lo
	s_wait_dscnt 0x0
	v_cmpx_eq_u64_e64 v[2:3], v[8:9]
	s_cbranch_execz .LBB38_34
; %bb.33:
	v_add_nc_u32_e32 v7, 0xffffff00, v12
	ds_load_b32 v7, v7
	s_wait_dscnt 0x0
	v_add_nc_u32_e32 v6, v7, v6
.LBB38_34:
	s_or_b32 exec_lo, exec_lo, s11
.LBB38_35:
	;; [unrolled: 26-line block ×3, first 2 shown]
	s_delay_alu instid0(SALU_CYCLE_1)
	s_or_b32 exec_lo, exec_lo, s11
	s_load_b64 s[26:27], s[0:1], 0x30
	v_cmp_gt_u32_e64 s11, 0xff, v0
	s_barrier_signal -1
	s_barrier_wait -1
	ds_store_b32 v12, v6
	s_wait_dscnt 0x0
	s_barrier_signal -1
	s_barrier_wait -1
	s_and_saveexec_b32 s15, s11
	s_cbranch_execz .LBB38_42
; %bb.40:
	ds_load_b64 v[8:9], v1 offset:8
	v_cmp_lt_i64_e64 s12, -1, v[2:3]
	s_wait_dscnt 0x0
	v_cmp_ne_u64_e32 vcc_lo, v[2:3], v[8:9]
	s_and_b32 s12, s12, vcc_lo
	s_delay_alu instid0(SALU_CYCLE_1)
	s_and_b32 exec_lo, exec_lo, s12
	s_cbranch_execz .LBB38_42
; %bb.41:
	s_wait_kmcnt 0x0
	v_lshl_add_u64 v[8:9], v[2:3], 2, s[26:27]
	global_load_b32 v7, v[8:9], off
	s_wait_loadcnt 0x0
	v_mad_u32 v7, v6, s13, v7
	global_store_b32 v[8:9], v7, off
.LBB38_42:
	s_wait_xcnt 0x0
	s_or_b32 exec_lo, exec_lo, s15
	v_cmp_lt_i64_e64 s12, s[18:19], 2
	s_and_b32 vcc_lo, exec_lo, s12
	s_cbranch_vccnz .LBB38_89
; %bb.43:
	v_dual_mov_b32 v7, 0 :: v_dual_lshlrev_b32 v6, 4, v0
	s_lshl_b64 s[30:31], s[30:31], 12
	v_add_nc_u64_e32 v[4:5], 0x100, v[4:5]
	s_add_nc_u64 s[20:21], s[20:21], s[30:31]
	s_ashr_i32 s35, s14, 31
	v_add_nc_u64_e32 v[2:3], s[20:21], v[6:7]
	s_mov_b32 s34, s14
	v_dual_add_nc_u32 v21, -4, v12 :: v_dual_add_nc_u32 v22, -8, v12
	v_add_nc_u32_e32 v23, -16, v12
	v_subrev_nc_u32_e32 v24, 32, v12
	v_subrev_nc_u32_e32 v25, 64, v12
	v_add_nc_u64_e32 v[8:9], 0x1000, v[2:3]
	v_add_nc_u32_e32 v26, 0xffffff80, v12
	v_add_nc_u32_e32 v27, 0xffffff00, v12
	;; [unrolled: 1-line block ×3, first 2 shown]
	s_sub_nc_u64 s[30:31], 0, s[34:35]
	s_add_nc_u64 s[18:19], s[18:19], -1
	s_mov_b32 s15, 0
	s_mov_b64 s[20:21], 0
	s_add_nc_u64 s[28:29], s[28:29], s[30:31]
	s_branch .LBB38_45
.LBB38_44:                              ;   in Loop: Header=BB38_45 Depth=1
	s_wait_xcnt 0x0
	s_or_b32 exec_lo, exec_lo, s30
	s_add_nc_u64 s[20:21], s[20:21], 1
	v_add_nc_u64_e32 v[4:5], 0x100, v[4:5]
	v_cmp_le_u64_e64 s12, s[18:19], s[20:21]
	v_add_nc_u64_e32 v[8:9], 0x1000, v[8:9]
	s_and_b32 vcc_lo, exec_lo, s12
	s_cbranch_vccnz .LBB38_89
.LBB38_45:                              ; =>This Inner Loop Header: Depth=1
	v_mov_b64_e32 v[2:3], -1
	v_mov_b32_e32 v6, 0
	s_mov_b32 s12, exec_lo
	v_cmpx_gt_i64_e64 s[16:17], v[4:5]
	s_cbranch_execz .LBB38_47
; %bb.46:                               ;   in Loop: Header=BB38_45 Depth=1
	global_load_b128 v[30:33], v[8:9], off th:TH_LOAD_NT
	v_add_nc_u64_e32 v[2:3], s[22:23], v[4:5]
	s_wait_loadcnt 0x0
	v_add_nc_u64_e32 v[10:11], s[28:29], v[32:33]
	global_load_i8 v6, v[2:3], off th:TH_LOAD_NT
	global_load_i8 v29, v[10:11], off
	s_wait_xcnt 0x1
	v_sub_nc_u64_e64 v[2:3], v[30:31], s[14:15]
	s_wait_loadcnt 0x0
	v_mul_i32_i24_e32 v6, v29, v6
.LBB38_47:                              ;   in Loop: Header=BB38_45 Depth=1
	s_wait_xcnt 0x0
	s_or_b32 exec_lo, exec_lo, s12
	s_and_saveexec_b32 s12, s2
	s_cbranch_execz .LBB38_54
; %bb.48:                               ;   in Loop: Header=BB38_45 Depth=1
	ds_load_b64 v[10:11], v7 offset:2040
	s_mov_b32 s30, exec_lo
	s_wait_dscnt 0x0
	v_cmpx_ne_u64_e64 v[2:3], v[10:11]
	s_xor_b32 s30, exec_lo, s30
	s_cbranch_execz .LBB38_51
; %bb.49:                               ;   in Loop: Header=BB38_45 Depth=1
	v_cmp_gt_i64_e32 vcc_lo, 0, v[10:11]
	s_cbranch_vccnz .LBB38_51
; %bb.50:                               ;   in Loop: Header=BB38_45 Depth=1
	v_lshlrev_b64_e32 v[10:11], 2, v[10:11]
	ds_load_b32 v30, v7 offset:3068
	s_wait_kmcnt 0x0
	v_add_nc_u64_e32 v[10:11], s[26:27], v[10:11]
	global_load_b32 v29, v[10:11], off
	s_wait_dscnt 0x0
	v_mul_lo_u32 v30, v30, s13
	s_wait_loadcnt 0x0
	s_delay_alu instid0(VALU_DEP_1)
	v_add_nc_u32_e32 v29, v30, v29
	global_store_b32 v[10:11], v29, off
.LBB38_51:                              ;   in Loop: Header=BB38_45 Depth=1
	s_wait_xcnt 0x0
	s_and_not1_saveexec_b32 s30, s30
	s_cbranch_execz .LBB38_53
; %bb.52:                               ;   in Loop: Header=BB38_45 Depth=1
	ds_load_b32 v10, v7 offset:3068
	s_wait_dscnt 0x0
	v_add_nc_u32_e32 v6, v10, v6
.LBB38_53:                              ;   in Loop: Header=BB38_45 Depth=1
	s_or_b32 exec_lo, exec_lo, s30
.LBB38_54:                              ;   in Loop: Header=BB38_45 Depth=1
	s_delay_alu instid0(SALU_CYCLE_1)
	s_or_b32 exec_lo, exec_lo, s12
	s_wait_storecnt 0x0
	s_barrier_signal -1
	s_barrier_wait -1
	ds_store_b64 v1, v[2:3]
	ds_store_b32 v12, v6
	s_wait_dscnt 0x0
	s_barrier_signal -1
	s_barrier_wait -1
	s_and_saveexec_b32 s12, s3
	s_cbranch_execz .LBB38_58
; %bb.55:                               ;   in Loop: Header=BB38_45 Depth=1
	ds_load_b64 v[10:11], v13
	s_mov_b32 s30, exec_lo
	s_wait_dscnt 0x0
	v_cmpx_eq_u64_e64 v[2:3], v[10:11]
	s_cbranch_execz .LBB38_57
; %bb.56:                               ;   in Loop: Header=BB38_45 Depth=1
	ds_load_b32 v10, v21
	s_wait_dscnt 0x0
	v_add_nc_u32_e32 v6, v10, v6
.LBB38_57:                              ;   in Loop: Header=BB38_45 Depth=1
	s_or_b32 exec_lo, exec_lo, s30
.LBB38_58:                              ;   in Loop: Header=BB38_45 Depth=1
	s_delay_alu instid0(SALU_CYCLE_1)
	s_or_b32 exec_lo, exec_lo, s12
	s_barrier_signal -1
	s_barrier_wait -1
	ds_store_b32 v12, v6
	s_wait_dscnt 0x0
	s_barrier_signal -1
	s_barrier_wait -1
	s_and_saveexec_b32 s12, s4
	s_cbranch_execz .LBB38_62
; %bb.59:                               ;   in Loop: Header=BB38_45 Depth=1
	ds_load_b64 v[10:11], v14
	s_mov_b32 s30, exec_lo
	s_wait_dscnt 0x0
	v_cmpx_eq_u64_e64 v[2:3], v[10:11]
	s_cbranch_execz .LBB38_61
; %bb.60:                               ;   in Loop: Header=BB38_45 Depth=1
	ds_load_b32 v10, v22
	s_wait_dscnt 0x0
	v_add_nc_u32_e32 v6, v10, v6
.LBB38_61:                              ;   in Loop: Header=BB38_45 Depth=1
	s_or_b32 exec_lo, exec_lo, s30
.LBB38_62:                              ;   in Loop: Header=BB38_45 Depth=1
	s_delay_alu instid0(SALU_CYCLE_1)
	s_or_b32 exec_lo, exec_lo, s12
	s_barrier_signal -1
	s_barrier_wait -1
	;; [unrolled: 23-line block ×8, first 2 shown]
	ds_store_b32 v12, v6
	s_wait_dscnt 0x0
	s_barrier_signal -1
	s_barrier_wait -1
	s_and_saveexec_b32 s30, s11
	s_cbranch_execz .LBB38_44
; %bb.87:                               ;   in Loop: Header=BB38_45 Depth=1
	ds_load_b64 v[10:11], v1 offset:8
	v_cmp_lt_i64_e64 s12, -1, v[2:3]
	s_wait_dscnt 0x0
	v_cmp_ne_u64_e32 vcc_lo, v[2:3], v[10:11]
	s_and_b32 s12, s12, vcc_lo
	s_delay_alu instid0(SALU_CYCLE_1)
	s_and_b32 exec_lo, exec_lo, s12
	s_cbranch_execz .LBB38_44
; %bb.88:                               ;   in Loop: Header=BB38_45 Depth=1
	s_wait_kmcnt 0x0
	v_lshl_add_u64 v[10:11], v[2:3], 2, s[26:27]
	global_load_b32 v29, v[10:11], off
	s_wait_loadcnt 0x0
	v_mad_u32 v29, v6, s13, v29
	global_store_b32 v[10:11], v29, off
	s_branch .LBB38_44
.LBB38_89:
	s_load_b128 s[0:3], s[0:1], 0x38
	s_mov_b32 s4, exec_lo
	v_cmpx_eq_u32_e32 0xff, v0
	s_cbranch_execz .LBB38_91
; %bb.90:
	v_mul_lo_u32 v0, v6, s13
	v_mov_b32_e32 v1, 0
	s_lshl_b64 s[4:5], s[24:25], 3
	s_lshl_b64 s[6:7], s[24:25], 2
	s_wait_kmcnt 0x0
	s_add_nc_u64 s[0:1], s[0:1], s[4:5]
	s_add_nc_u64 s[2:3], s[2:3], s[6:7]
	s_clause 0x1
	global_store_b64 v1, v[2:3], s[0:1] th:TH_STORE_NT
	global_store_b32 v1, v0, s[2:3] th:TH_STORE_NT
.LBB38_91:
	s_endpgm
	.section	.rodata,"a",@progbits
	.p2align	6, 0x0
	.amdhsa_kernel _ZN9rocsparseL26coomvn_aos_segmented_loopsILj256ElaaiiEEvlT0_NS_24const_host_device_scalarIT4_EEPKS1_PKT1_PKT2_PT3_PS1_PS3_21rocsparse_index_base_b
		.amdhsa_group_segment_fixed_size 3072
		.amdhsa_private_segment_fixed_size 0
		.amdhsa_kernarg_size 80
		.amdhsa_user_sgpr_count 2
		.amdhsa_user_sgpr_dispatch_ptr 0
		.amdhsa_user_sgpr_queue_ptr 0
		.amdhsa_user_sgpr_kernarg_segment_ptr 1
		.amdhsa_user_sgpr_dispatch_id 0
		.amdhsa_user_sgpr_kernarg_preload_length 0
		.amdhsa_user_sgpr_kernarg_preload_offset 0
		.amdhsa_user_sgpr_private_segment_size 0
		.amdhsa_wavefront_size32 1
		.amdhsa_uses_dynamic_stack 0
		.amdhsa_enable_private_segment 0
		.amdhsa_system_sgpr_workgroup_id_x 1
		.amdhsa_system_sgpr_workgroup_id_y 0
		.amdhsa_system_sgpr_workgroup_id_z 0
		.amdhsa_system_sgpr_workgroup_info 0
		.amdhsa_system_vgpr_workitem_id 0
		.amdhsa_next_free_vgpr 34
		.amdhsa_next_free_sgpr 36
		.amdhsa_named_barrier_count 0
		.amdhsa_reserve_vcc 1
		.amdhsa_float_round_mode_32 0
		.amdhsa_float_round_mode_16_64 0
		.amdhsa_float_denorm_mode_32 3
		.amdhsa_float_denorm_mode_16_64 3
		.amdhsa_fp16_overflow 0
		.amdhsa_memory_ordered 1
		.amdhsa_forward_progress 1
		.amdhsa_inst_pref_size 22
		.amdhsa_round_robin_scheduling 0
		.amdhsa_exception_fp_ieee_invalid_op 0
		.amdhsa_exception_fp_denorm_src 0
		.amdhsa_exception_fp_ieee_div_zero 0
		.amdhsa_exception_fp_ieee_overflow 0
		.amdhsa_exception_fp_ieee_underflow 0
		.amdhsa_exception_fp_ieee_inexact 0
		.amdhsa_exception_int_div_zero 0
	.end_amdhsa_kernel
	.section	.text._ZN9rocsparseL26coomvn_aos_segmented_loopsILj256ElaaiiEEvlT0_NS_24const_host_device_scalarIT4_EEPKS1_PKT1_PKT2_PT3_PS1_PS3_21rocsparse_index_base_b,"axG",@progbits,_ZN9rocsparseL26coomvn_aos_segmented_loopsILj256ElaaiiEEvlT0_NS_24const_host_device_scalarIT4_EEPKS1_PKT1_PKT2_PT3_PS1_PS3_21rocsparse_index_base_b,comdat
.Lfunc_end38:
	.size	_ZN9rocsparseL26coomvn_aos_segmented_loopsILj256ElaaiiEEvlT0_NS_24const_host_device_scalarIT4_EEPKS1_PKT1_PKT2_PT3_PS1_PS3_21rocsparse_index_base_b, .Lfunc_end38-_ZN9rocsparseL26coomvn_aos_segmented_loopsILj256ElaaiiEEvlT0_NS_24const_host_device_scalarIT4_EEPKS1_PKT1_PKT2_PT3_PS1_PS3_21rocsparse_index_base_b
                                        ; -- End function
	.set _ZN9rocsparseL26coomvn_aos_segmented_loopsILj256ElaaiiEEvlT0_NS_24const_host_device_scalarIT4_EEPKS1_PKT1_PKT2_PT3_PS1_PS3_21rocsparse_index_base_b.num_vgpr, 34
	.set _ZN9rocsparseL26coomvn_aos_segmented_loopsILj256ElaaiiEEvlT0_NS_24const_host_device_scalarIT4_EEPKS1_PKT1_PKT2_PT3_PS1_PS3_21rocsparse_index_base_b.num_agpr, 0
	.set _ZN9rocsparseL26coomvn_aos_segmented_loopsILj256ElaaiiEEvlT0_NS_24const_host_device_scalarIT4_EEPKS1_PKT1_PKT2_PT3_PS1_PS3_21rocsparse_index_base_b.numbered_sgpr, 36
	.set _ZN9rocsparseL26coomvn_aos_segmented_loopsILj256ElaaiiEEvlT0_NS_24const_host_device_scalarIT4_EEPKS1_PKT1_PKT2_PT3_PS1_PS3_21rocsparse_index_base_b.num_named_barrier, 0
	.set _ZN9rocsparseL26coomvn_aos_segmented_loopsILj256ElaaiiEEvlT0_NS_24const_host_device_scalarIT4_EEPKS1_PKT1_PKT2_PT3_PS1_PS3_21rocsparse_index_base_b.private_seg_size, 0
	.set _ZN9rocsparseL26coomvn_aos_segmented_loopsILj256ElaaiiEEvlT0_NS_24const_host_device_scalarIT4_EEPKS1_PKT1_PKT2_PT3_PS1_PS3_21rocsparse_index_base_b.uses_vcc, 1
	.set _ZN9rocsparseL26coomvn_aos_segmented_loopsILj256ElaaiiEEvlT0_NS_24const_host_device_scalarIT4_EEPKS1_PKT1_PKT2_PT3_PS1_PS3_21rocsparse_index_base_b.uses_flat_scratch, 0
	.set _ZN9rocsparseL26coomvn_aos_segmented_loopsILj256ElaaiiEEvlT0_NS_24const_host_device_scalarIT4_EEPKS1_PKT1_PKT2_PT3_PS1_PS3_21rocsparse_index_base_b.has_dyn_sized_stack, 0
	.set _ZN9rocsparseL26coomvn_aos_segmented_loopsILj256ElaaiiEEvlT0_NS_24const_host_device_scalarIT4_EEPKS1_PKT1_PKT2_PT3_PS1_PS3_21rocsparse_index_base_b.has_recursion, 0
	.set _ZN9rocsparseL26coomvn_aos_segmented_loopsILj256ElaaiiEEvlT0_NS_24const_host_device_scalarIT4_EEPKS1_PKT1_PKT2_PT3_PS1_PS3_21rocsparse_index_base_b.has_indirect_call, 0
	.section	.AMDGPU.csdata,"",@progbits
; Kernel info:
; codeLenInByte = 2768
; TotalNumSgprs: 38
; NumVgprs: 34
; ScratchSize: 0
; MemoryBound: 0
; FloatMode: 240
; IeeeMode: 1
; LDSByteSize: 3072 bytes/workgroup (compile time only)
; SGPRBlocks: 0
; VGPRBlocks: 2
; NumSGPRsForWavesPerEU: 38
; NumVGPRsForWavesPerEU: 34
; NamedBarCnt: 0
; Occupancy: 16
; WaveLimiterHint : 1
; COMPUTE_PGM_RSRC2:SCRATCH_EN: 0
; COMPUTE_PGM_RSRC2:USER_SGPR: 2
; COMPUTE_PGM_RSRC2:TRAP_HANDLER: 0
; COMPUTE_PGM_RSRC2:TGID_X_EN: 1
; COMPUTE_PGM_RSRC2:TGID_Y_EN: 0
; COMPUTE_PGM_RSRC2:TGID_Z_EN: 0
; COMPUTE_PGM_RSRC2:TIDIG_COMP_CNT: 0
	.section	.text._ZN9rocsparseL29coomvn_segmented_loops_reduceILj256EliiEEvT0_NS_24const_host_device_scalarIT2_EEPKS1_PKS3_PT1_b,"axG",@progbits,_ZN9rocsparseL29coomvn_segmented_loops_reduceILj256EliiEEvT0_NS_24const_host_device_scalarIT2_EEPKS1_PKS3_PT1_b,comdat
	.globl	_ZN9rocsparseL29coomvn_segmented_loops_reduceILj256EliiEEvT0_NS_24const_host_device_scalarIT2_EEPKS1_PKS3_PT1_b ; -- Begin function _ZN9rocsparseL29coomvn_segmented_loops_reduceILj256EliiEEvT0_NS_24const_host_device_scalarIT2_EEPKS1_PKS3_PT1_b
	.p2align	8
	.type	_ZN9rocsparseL29coomvn_segmented_loops_reduceILj256EliiEEvT0_NS_24const_host_device_scalarIT2_EEPKS1_PKS3_PT1_b,@function
_ZN9rocsparseL29coomvn_segmented_loops_reduceILj256EliiEEvT0_NS_24const_host_device_scalarIT2_EEPKS1_PKS3_PT1_b: ; @_ZN9rocsparseL29coomvn_segmented_loops_reduceILj256EliiEEvT0_NS_24const_host_device_scalarIT2_EEPKS1_PKS3_PT1_b
; %bb.0:
	s_clause 0x1
	s_load_b32 s2, s[0:1], 0x28
	s_load_b128 s[4:7], s[0:1], 0x0
	s_mov_b32 s3, 0
	s_wait_kmcnt 0x0
	s_bitcmp0_b32 s2, 0
	s_cbranch_scc0 .LBB39_2
; %bb.1:
	s_load_b32 s2, s[6:7], 0x0
	s_and_not1_b32 vcc_lo, exec_lo, s3
	s_cbranch_vccz .LBB39_3
	s_branch .LBB39_4
.LBB39_2:
                                        ; implicit-def: $sgpr2
.LBB39_3:
	s_wait_kmcnt 0x0
	s_mov_b32 s2, s6
.LBB39_4:
	s_wait_kmcnt 0x0
	s_cmp_eq_u32 s2, 0
	s_cbranch_scc1 .LBB39_46
; %bb.5:
	v_cmp_lt_i64_e64 s2, s[4:5], 1
	s_and_b32 vcc_lo, exec_lo, s2
	s_cbranch_vccnz .LBB39_46
; %bb.6:
	s_clause 0x1
	s_load_b128 s[8:11], s[0:1], 0x10
	s_load_b64 s[2:3], s[0:1], 0x20
	s_wait_xcnt 0x0
	v_sub_co_u32 v3, s0, v0, 1
	s_xor_b32 s12, s0, -1
	v_sub_co_u32 v5, s0, v0, 2
	v_lshl_add_u32 v14, v3, 2, 0x800
	s_xor_b32 s13, s0, -1
	v_sub_co_u32 v3, s0, v0, 4
	s_delay_alu instid0(VALU_DEP_3) | instskip(SKIP_2) | instid1(VALU_DEP_3)
	v_lshl_add_u32 v16, v5, 2, 0x800
	s_xor_b32 s14, s0, -1
	v_sub_co_u32 v5, s0, v0, 8
	v_lshl_add_u32 v18, v3, 2, 0x800
	s_xor_b32 s15, s0, -1
	v_sub_co_u32 v3, s0, v0, 16
	v_dual_mov_b32 v1, 0 :: v_dual_lshlrev_b32 v4, 2, v0
	v_lshl_add_u32 v20, v5, 2, 0x800
	s_xor_b32 s16, s0, -1
	v_sub_co_u32 v5, s0, v0, 32
	v_lshlrev_b32_e32 v2, 3, v0
	v_lshl_add_u32 v22, v3, 2, 0x800
	v_sub_co_u32 v6, s1, v0, 64
	s_delay_alu instid0(VALU_DEP_4)
	v_lshl_add_u32 v24, v5, 2, 0x800
	v_dual_mov_b32 v5, v1 :: v_dual_mov_b32 v3, v1
	v_subrev_co_u32 v8, s6, 0x80, v0
	v_or_b32_e32 v12, 0x800, v4
	v_lshl_add_u32 v26, v6, 2, 0x800
	s_wait_kmcnt 0x0
	v_add_nc_u64_e32 v[4:5], s[10:11], v[4:5]
	v_add_nc_u64_e32 v[6:7], s[8:9], v[2:3]
	v_dual_add_nc_u32 v13, -8, v2 :: v_dual_add_nc_u32 v15, -16, v2
	v_subrev_nc_u32_e32 v17, 32, v2
	v_subrev_nc_u32_e32 v19, 64, v2
	v_add_nc_u32_e32 v21, 0xffffff80, v2
	s_xor_b32 s17, s0, -1
	v_add_nc_u32_e32 v23, 0xffffff00, v2
	v_add_nc_u32_e32 v25, 0xfffffe00, v2
	;; [unrolled: 1-line block ×3, first 2 shown]
	v_lshl_add_u32 v3, v8, 2, 0x800
	v_cmp_gt_u32_e64 s0, 0xff, v0
	s_xor_b32 s8, s1, -1
	s_xor_b32 s9, s6, -1
	s_mov_b64 s[6:7], 0
	s_branch .LBB39_8
.LBB39_7:                               ;   in Loop: Header=BB39_8 Depth=1
	s_wait_xcnt 0x0
	s_or_b32 exec_lo, exec_lo, s1
	s_add_nc_u64 s[6:7], s[6:7], 0x100
	v_add_nc_u64_e32 v[4:5], 0x400, v[4:5]
	v_cmp_lt_i64_e64 s1, s[6:7], s[4:5]
	v_add_nc_u64_e32 v[6:7], 0x800, v[6:7]
	s_wait_storecnt 0x0
	s_barrier_signal -1
	s_barrier_wait -1
	s_and_b32 vcc_lo, exec_lo, s1
	s_cbranch_vccz .LBB39_46
.LBB39_8:                               ; =>This Inner Loop Header: Depth=1
	v_add_nc_u64_e32 v[8:9], s[6:7], v[0:1]
	v_mov_b32_e32 v10, 0
	s_delay_alu instid0(VALU_DEP_2)
	v_cmp_gt_i64_e32 vcc_lo, s[4:5], v[8:9]
	v_mov_b64_e32 v[8:9], -1
	s_and_saveexec_b32 s1, vcc_lo
	s_cbranch_execz .LBB39_10
; %bb.9:                                ;   in Loop: Header=BB39_8 Depth=1
	global_load_b64 v[8:9], v[6:7], off
	global_load_b32 v10, v[4:5], off
.LBB39_10:                              ;   in Loop: Header=BB39_8 Depth=1
	s_wait_xcnt 0x0
	s_or_b32 exec_lo, exec_lo, s1
	s_wait_loadcnt 0x1
	ds_store_b64 v2, v[8:9]
	s_wait_loadcnt 0x0
	ds_store_b32 v12, v10
	v_dual_mov_b32 v8, 0 :: v_dual_mov_b32 v9, 0
	s_wait_dscnt 0x0
	s_barrier_signal -1
	s_barrier_wait -1
	s_and_saveexec_b32 s1, s12
	s_cbranch_execz .LBB39_14
; %bb.11:                               ;   in Loop: Header=BB39_8 Depth=1
	ds_load_2addr_b64 v[28:31], v13 offset1:1
	v_mov_b32_e32 v9, 0
	s_mov_b32 s10, exec_lo
	s_wait_dscnt 0x0
	v_cmpx_eq_u64_e64 v[30:31], v[28:29]
; %bb.12:                               ;   in Loop: Header=BB39_8 Depth=1
	ds_load_b32 v9, v14
; %bb.13:                               ;   in Loop: Header=BB39_8 Depth=1
	s_or_b32 exec_lo, exec_lo, s10
.LBB39_14:                              ;   in Loop: Header=BB39_8 Depth=1
	s_delay_alu instid0(SALU_CYCLE_1)
	s_or_b32 exec_lo, exec_lo, s1
	s_wait_dscnt 0x0
	s_barrier_signal -1
	s_barrier_wait -1
	ds_load_b32 v10, v12
	s_wait_dscnt 0x0
	v_add_nc_u32_e32 v9, v10, v9
	ds_store_b32 v12, v9
	s_wait_dscnt 0x0
	s_barrier_signal -1
	s_barrier_wait -1
	s_and_saveexec_b32 s1, s13
	s_cbranch_execz .LBB39_18
; %bb.15:                               ;   in Loop: Header=BB39_8 Depth=1
	ds_load_b64 v[8:9], v2
	ds_load_b64 v[10:11], v15
	s_wait_dscnt 0x0
	v_cmp_eq_u64_e32 vcc_lo, v[8:9], v[10:11]
	v_mov_b32_e32 v8, 0
	s_and_saveexec_b32 s10, vcc_lo
; %bb.16:                               ;   in Loop: Header=BB39_8 Depth=1
	ds_load_b32 v8, v16
; %bb.17:                               ;   in Loop: Header=BB39_8 Depth=1
	s_or_b32 exec_lo, exec_lo, s10
.LBB39_18:                              ;   in Loop: Header=BB39_8 Depth=1
	s_delay_alu instid0(SALU_CYCLE_1)
	s_or_b32 exec_lo, exec_lo, s1
	s_wait_dscnt 0x0
	s_barrier_signal -1
	s_barrier_wait -1
	ds_load_b32 v9, v12
	s_wait_dscnt 0x0
	v_dual_add_nc_u32 v10, v9, v8 :: v_dual_mov_b32 v8, 0
	v_mov_b32_e32 v9, 0
	ds_store_b32 v12, v10
	s_wait_dscnt 0x0
	s_barrier_signal -1
	s_barrier_wait -1
	s_and_saveexec_b32 s1, s14
	s_cbranch_execz .LBB39_22
; %bb.19:                               ;   in Loop: Header=BB39_8 Depth=1
	ds_load_b64 v[10:11], v2
	ds_load_b64 v[28:29], v17
	v_mov_b32_e32 v9, 0
	s_mov_b32 s10, exec_lo
	s_wait_dscnt 0x0
	v_cmpx_eq_u64_e64 v[10:11], v[28:29]
; %bb.20:                               ;   in Loop: Header=BB39_8 Depth=1
	ds_load_b32 v9, v18
; %bb.21:                               ;   in Loop: Header=BB39_8 Depth=1
	s_or_b32 exec_lo, exec_lo, s10
.LBB39_22:                              ;   in Loop: Header=BB39_8 Depth=1
	s_delay_alu instid0(SALU_CYCLE_1)
	s_or_b32 exec_lo, exec_lo, s1
	s_wait_dscnt 0x0
	s_barrier_signal -1
	s_barrier_wait -1
	ds_load_b32 v10, v12
	s_wait_dscnt 0x0
	v_add_nc_u32_e32 v9, v10, v9
	ds_store_b32 v12, v9
	s_wait_dscnt 0x0
	s_barrier_signal -1
	s_barrier_wait -1
	s_and_saveexec_b32 s1, s15
	s_cbranch_execz .LBB39_26
; %bb.23:                               ;   in Loop: Header=BB39_8 Depth=1
	ds_load_b64 v[8:9], v2
	ds_load_b64 v[10:11], v19
	s_wait_dscnt 0x0
	v_cmp_eq_u64_e32 vcc_lo, v[8:9], v[10:11]
	v_mov_b32_e32 v8, 0
	s_and_saveexec_b32 s10, vcc_lo
; %bb.24:                               ;   in Loop: Header=BB39_8 Depth=1
	ds_load_b32 v8, v20
; %bb.25:                               ;   in Loop: Header=BB39_8 Depth=1
	s_or_b32 exec_lo, exec_lo, s10
.LBB39_26:                              ;   in Loop: Header=BB39_8 Depth=1
	s_delay_alu instid0(SALU_CYCLE_1)
	s_or_b32 exec_lo, exec_lo, s1
	s_wait_dscnt 0x0
	s_barrier_signal -1
	s_barrier_wait -1
	ds_load_b32 v9, v12
	s_wait_dscnt 0x0
	v_dual_add_nc_u32 v10, v9, v8 :: v_dual_mov_b32 v8, 0
	v_mov_b32_e32 v9, 0
	ds_store_b32 v12, v10
	s_wait_dscnt 0x0
	s_barrier_signal -1
	s_barrier_wait -1
	s_and_saveexec_b32 s1, s16
	s_cbranch_execz .LBB39_30
; %bb.27:                               ;   in Loop: Header=BB39_8 Depth=1
	ds_load_b64 v[10:11], v2
	ds_load_b64 v[28:29], v21
	v_mov_b32_e32 v9, 0
	s_mov_b32 s10, exec_lo
	s_wait_dscnt 0x0
	v_cmpx_eq_u64_e64 v[10:11], v[28:29]
; %bb.28:                               ;   in Loop: Header=BB39_8 Depth=1
	ds_load_b32 v9, v22
; %bb.29:                               ;   in Loop: Header=BB39_8 Depth=1
	s_or_b32 exec_lo, exec_lo, s10
.LBB39_30:                              ;   in Loop: Header=BB39_8 Depth=1
	;; [unrolled: 53-line block ×3, first 2 shown]
	s_delay_alu instid0(SALU_CYCLE_1)
	s_or_b32 exec_lo, exec_lo, s1
	s_wait_dscnt 0x0
	s_barrier_signal -1
	s_barrier_wait -1
	ds_load_b32 v10, v12
	s_wait_dscnt 0x0
	v_add_nc_u32_e32 v9, v10, v9
	ds_store_b32 v12, v9
	s_wait_dscnt 0x0
	s_barrier_signal -1
	s_barrier_wait -1
	s_and_saveexec_b32 s1, s9
	s_cbranch_execz .LBB39_42
; %bb.39:                               ;   in Loop: Header=BB39_8 Depth=1
	ds_load_b64 v[8:9], v2
	ds_load_b64 v[10:11], v27
	s_wait_dscnt 0x0
	v_cmp_eq_u64_e32 vcc_lo, v[8:9], v[10:11]
	v_mov_b32_e32 v8, 0
	s_and_saveexec_b32 s10, vcc_lo
; %bb.40:                               ;   in Loop: Header=BB39_8 Depth=1
	ds_load_b32 v8, v3
; %bb.41:                               ;   in Loop: Header=BB39_8 Depth=1
	s_or_b32 exec_lo, exec_lo, s10
.LBB39_42:                              ;   in Loop: Header=BB39_8 Depth=1
	s_delay_alu instid0(SALU_CYCLE_1)
	s_or_b32 exec_lo, exec_lo, s1
	s_wait_dscnt 0x0
	s_barrier_signal -1
	s_barrier_wait -1
	ds_load_b32 v9, v12
	v_mov_b64_e32 v[10:11], -1
	s_wait_dscnt 0x0
	v_add_nc_u32_e32 v8, v9, v8
	ds_store_b32 v12, v8
	s_wait_dscnt 0x0
	s_barrier_signal -1
	s_barrier_wait -1
	ds_load_b64 v[8:9], v2
	s_and_saveexec_b32 s1, s0
; %bb.43:                               ;   in Loop: Header=BB39_8 Depth=1
	ds_load_b64 v[10:11], v2 offset:8
; %bb.44:                               ;   in Loop: Header=BB39_8 Depth=1
	s_or_b32 exec_lo, exec_lo, s1
	s_wait_dscnt 0x0
	v_cmp_ne_u64_e32 vcc_lo, v[8:9], v[10:11]
	v_cmp_lt_i64_e64 s1, -1, v[8:9]
	s_and_b32 s10, s1, vcc_lo
	s_delay_alu instid0(SALU_CYCLE_1)
	s_and_saveexec_b32 s1, s10
	s_cbranch_execz .LBB39_7
; %bb.45:                               ;   in Loop: Header=BB39_8 Depth=1
	v_lshl_add_u64 v[8:9], v[8:9], 2, s[2:3]
	ds_load_b32 v11, v12
	global_load_b32 v10, v[8:9], off
	s_wait_loadcnt_dscnt 0x0
	v_add_nc_u32_e32 v10, v11, v10
	global_store_b32 v[8:9], v10, off
	s_branch .LBB39_7
.LBB39_46:
	s_endpgm
	.section	.rodata,"a",@progbits
	.p2align	6, 0x0
	.amdhsa_kernel _ZN9rocsparseL29coomvn_segmented_loops_reduceILj256EliiEEvT0_NS_24const_host_device_scalarIT2_EEPKS1_PKS3_PT1_b
		.amdhsa_group_segment_fixed_size 3072
		.amdhsa_private_segment_fixed_size 0
		.amdhsa_kernarg_size 44
		.amdhsa_user_sgpr_count 2
		.amdhsa_user_sgpr_dispatch_ptr 0
		.amdhsa_user_sgpr_queue_ptr 0
		.amdhsa_user_sgpr_kernarg_segment_ptr 1
		.amdhsa_user_sgpr_dispatch_id 0
		.amdhsa_user_sgpr_kernarg_preload_length 0
		.amdhsa_user_sgpr_kernarg_preload_offset 0
		.amdhsa_user_sgpr_private_segment_size 0
		.amdhsa_wavefront_size32 1
		.amdhsa_uses_dynamic_stack 0
		.amdhsa_enable_private_segment 0
		.amdhsa_system_sgpr_workgroup_id_x 1
		.amdhsa_system_sgpr_workgroup_id_y 0
		.amdhsa_system_sgpr_workgroup_id_z 0
		.amdhsa_system_sgpr_workgroup_info 0
		.amdhsa_system_vgpr_workitem_id 0
		.amdhsa_next_free_vgpr 32
		.amdhsa_next_free_sgpr 18
		.amdhsa_named_barrier_count 0
		.amdhsa_reserve_vcc 1
		.amdhsa_float_round_mode_32 0
		.amdhsa_float_round_mode_16_64 0
		.amdhsa_float_denorm_mode_32 3
		.amdhsa_float_denorm_mode_16_64 3
		.amdhsa_fp16_overflow 0
		.amdhsa_memory_ordered 1
		.amdhsa_forward_progress 1
		.amdhsa_inst_pref_size 13
		.amdhsa_round_robin_scheduling 0
		.amdhsa_exception_fp_ieee_invalid_op 0
		.amdhsa_exception_fp_denorm_src 0
		.amdhsa_exception_fp_ieee_div_zero 0
		.amdhsa_exception_fp_ieee_overflow 0
		.amdhsa_exception_fp_ieee_underflow 0
		.amdhsa_exception_fp_ieee_inexact 0
		.amdhsa_exception_int_div_zero 0
	.end_amdhsa_kernel
	.section	.text._ZN9rocsparseL29coomvn_segmented_loops_reduceILj256EliiEEvT0_NS_24const_host_device_scalarIT2_EEPKS1_PKS3_PT1_b,"axG",@progbits,_ZN9rocsparseL29coomvn_segmented_loops_reduceILj256EliiEEvT0_NS_24const_host_device_scalarIT2_EEPKS1_PKS3_PT1_b,comdat
.Lfunc_end39:
	.size	_ZN9rocsparseL29coomvn_segmented_loops_reduceILj256EliiEEvT0_NS_24const_host_device_scalarIT2_EEPKS1_PKS3_PT1_b, .Lfunc_end39-_ZN9rocsparseL29coomvn_segmented_loops_reduceILj256EliiEEvT0_NS_24const_host_device_scalarIT2_EEPKS1_PKS3_PT1_b
                                        ; -- End function
	.set _ZN9rocsparseL29coomvn_segmented_loops_reduceILj256EliiEEvT0_NS_24const_host_device_scalarIT2_EEPKS1_PKS3_PT1_b.num_vgpr, 32
	.set _ZN9rocsparseL29coomvn_segmented_loops_reduceILj256EliiEEvT0_NS_24const_host_device_scalarIT2_EEPKS1_PKS3_PT1_b.num_agpr, 0
	.set _ZN9rocsparseL29coomvn_segmented_loops_reduceILj256EliiEEvT0_NS_24const_host_device_scalarIT2_EEPKS1_PKS3_PT1_b.numbered_sgpr, 18
	.set _ZN9rocsparseL29coomvn_segmented_loops_reduceILj256EliiEEvT0_NS_24const_host_device_scalarIT2_EEPKS1_PKS3_PT1_b.num_named_barrier, 0
	.set _ZN9rocsparseL29coomvn_segmented_loops_reduceILj256EliiEEvT0_NS_24const_host_device_scalarIT2_EEPKS1_PKS3_PT1_b.private_seg_size, 0
	.set _ZN9rocsparseL29coomvn_segmented_loops_reduceILj256EliiEEvT0_NS_24const_host_device_scalarIT2_EEPKS1_PKS3_PT1_b.uses_vcc, 1
	.set _ZN9rocsparseL29coomvn_segmented_loops_reduceILj256EliiEEvT0_NS_24const_host_device_scalarIT2_EEPKS1_PKS3_PT1_b.uses_flat_scratch, 0
	.set _ZN9rocsparseL29coomvn_segmented_loops_reduceILj256EliiEEvT0_NS_24const_host_device_scalarIT2_EEPKS1_PKS3_PT1_b.has_dyn_sized_stack, 0
	.set _ZN9rocsparseL29coomvn_segmented_loops_reduceILj256EliiEEvT0_NS_24const_host_device_scalarIT2_EEPKS1_PKS3_PT1_b.has_recursion, 0
	.set _ZN9rocsparseL29coomvn_segmented_loops_reduceILj256EliiEEvT0_NS_24const_host_device_scalarIT2_EEPKS1_PKS3_PT1_b.has_indirect_call, 0
	.section	.AMDGPU.csdata,"",@progbits
; Kernel info:
; codeLenInByte = 1624
; TotalNumSgprs: 20
; NumVgprs: 32
; ScratchSize: 0
; MemoryBound: 0
; FloatMode: 240
; IeeeMode: 1
; LDSByteSize: 3072 bytes/workgroup (compile time only)
; SGPRBlocks: 0
; VGPRBlocks: 1
; NumSGPRsForWavesPerEU: 20
; NumVGPRsForWavesPerEU: 32
; NamedBarCnt: 0
; Occupancy: 16
; WaveLimiterHint : 0
; COMPUTE_PGM_RSRC2:SCRATCH_EN: 0
; COMPUTE_PGM_RSRC2:USER_SGPR: 2
; COMPUTE_PGM_RSRC2:TRAP_HANDLER: 0
; COMPUTE_PGM_RSRC2:TGID_X_EN: 1
; COMPUTE_PGM_RSRC2:TGID_Y_EN: 0
; COMPUTE_PGM_RSRC2:TGID_Z_EN: 0
; COMPUTE_PGM_RSRC2:TIDIG_COMP_CNT: 0
	.section	.text._ZN9rocsparseL23coomvn_aos_atomic_loopsILj256ELj1EiaaffEEvlNS_24const_host_device_scalarIT5_EEPKT1_PKT2_PKT3_PT4_21rocsparse_index_base_b,"axG",@progbits,_ZN9rocsparseL23coomvn_aos_atomic_loopsILj256ELj1EiaaffEEvlNS_24const_host_device_scalarIT5_EEPKT1_PKT2_PKT3_PT4_21rocsparse_index_base_b,comdat
	.globl	_ZN9rocsparseL23coomvn_aos_atomic_loopsILj256ELj1EiaaffEEvlNS_24const_host_device_scalarIT5_EEPKT1_PKT2_PKT3_PT4_21rocsparse_index_base_b ; -- Begin function _ZN9rocsparseL23coomvn_aos_atomic_loopsILj256ELj1EiaaffEEvlNS_24const_host_device_scalarIT5_EEPKT1_PKT2_PKT3_PT4_21rocsparse_index_base_b
	.p2align	8
	.type	_ZN9rocsparseL23coomvn_aos_atomic_loopsILj256ELj1EiaaffEEvlNS_24const_host_device_scalarIT5_EEPKT1_PKT2_PKT3_PT4_21rocsparse_index_base_b,@function
_ZN9rocsparseL23coomvn_aos_atomic_loopsILj256ELj1EiaaffEEvlNS_24const_host_device_scalarIT5_EEPKT1_PKT2_PKT3_PT4_21rocsparse_index_base_b: ; @_ZN9rocsparseL23coomvn_aos_atomic_loopsILj256ELj1EiaaffEEvlNS_24const_host_device_scalarIT5_EEPKT1_PKT2_PKT3_PT4_21rocsparse_index_base_b
; %bb.0:
	s_clause 0x1
	s_load_b64 s[2:3], s[0:1], 0x30
	s_load_b128 s[4:7], s[0:1], 0x0
	s_wait_kmcnt 0x0
	s_bitcmp1_b32 s3, 0
	s_cselect_b32 s3, -1, 0
	s_delay_alu instid0(SALU_CYCLE_1)
	s_and_b32 vcc_lo, exec_lo, s3
	s_cbranch_vccnz .LBB40_2
; %bb.1:
	s_load_b32 s6, s[6:7], 0x0
.LBB40_2:
	s_wait_kmcnt 0x0
	s_cmp_eq_f32 s6, 0
	s_cbranch_scc1 .LBB40_42
; %bb.3:
	s_bfe_u32 s3, ttmp6, 0x4000c
	s_and_b32 s7, ttmp6, 15
	s_add_co_i32 s3, s3, 1
	s_getreg_b32 s8, hwreg(HW_REG_IB_STS2, 6, 4)
	s_mul_i32 s3, ttmp9, s3
	v_dual_mov_b32 v3, 0 :: v_dual_mov_b32 v1, -1
	s_add_co_i32 s7, s7, s3
	s_cmp_eq_u32 s8, 0
	s_cselect_b32 s3, ttmp9, s7
	s_delay_alu instid0(SALU_CYCLE_1) | instskip(SKIP_1) | instid1(VALU_DEP_1)
	v_lshl_or_b32 v2, s3, 8, v0
	s_mov_b32 s3, exec_lo
	v_cmpx_gt_i64_e64 s[4:5], v[2:3]
	s_cbranch_execz .LBB40_5
; %bb.4:
	s_clause 0x1
	s_load_b128 s[8:11], s[0:1], 0x10
	s_load_b64 s[4:5], s[0:1], 0x20
	s_wait_kmcnt 0x0
	v_lshl_add_u64 v[4:5], v[2:3], 3, s[8:9]
	v_add_nc_u64_e32 v[2:3], s[10:11], v[2:3]
	global_load_b64 v[4:5], v[4:5], off th:TH_LOAD_NT
	s_wait_loadcnt 0x0
	v_subrev_nc_u32_e32 v1, s2, v5
	global_load_i8 v5, v[2:3], off th:TH_LOAD_NT
	global_load_i8 v6, v1, s[4:5]
	s_wait_xcnt 0x0
	v_subrev_nc_u32_e32 v1, s2, v4
	s_wait_loadcnt 0x1
	v_cvt_f32_i32_e32 v2, v5
	s_wait_loadcnt 0x0
	v_cvt_f32_i32_e32 v3, v6
	s_delay_alu instid0(VALU_DEP_1)
	v_mul_f32_e32 v3, v2, v3
.LBB40_5:
	s_or_b32 exec_lo, exec_lo, s3
	v_lshlrev_b32_e32 v2, 2, v0
	s_mov_b32 s2, exec_lo
	s_delay_alu instid0(VALU_DEP_1)
	v_or_b32_e32 v4, 0x400, v2
	ds_store_2addr_stride64_b32 v2, v1, v3 offset1:4
	s_wait_dscnt 0x0
	s_barrier_signal -1
	s_barrier_wait -1
	v_cmpx_ne_u32_e32 0, v0
	s_cbranch_execz .LBB40_9
; %bb.6:
	v_add_nc_u32_e32 v5, -4, v2
	s_mov_b32 s3, exec_lo
	ds_load_b32 v5, v5
	s_wait_dscnt 0x0
	v_cmpx_eq_u32_e64 v1, v5
	s_cbranch_execz .LBB40_8
; %bb.7:
	v_add_nc_u32_e32 v5, -4, v4
	ds_load_b32 v5, v5
	s_wait_dscnt 0x0
	v_add_f32_e32 v3, v3, v5
.LBB40_8:
	s_or_b32 exec_lo, exec_lo, s3
.LBB40_9:
	s_delay_alu instid0(SALU_CYCLE_1) | instskip(NEXT) | instid1(SALU_CYCLE_1)
	s_or_b32 exec_lo, exec_lo, s2
	s_mov_b32 s2, exec_lo
	s_barrier_signal -1
	s_barrier_wait -1
	ds_store_b32 v4, v3
	s_wait_dscnt 0x0
	s_barrier_signal -1
	s_barrier_wait -1
	v_cmpx_lt_u32_e32 1, v0
	s_cbranch_execz .LBB40_13
; %bb.10:
	v_add_nc_u32_e32 v5, -8, v2
	s_mov_b32 s3, exec_lo
	ds_load_b32 v5, v5
	s_wait_dscnt 0x0
	v_cmpx_eq_u32_e64 v1, v5
	s_cbranch_execz .LBB40_12
; %bb.11:
	v_add_nc_u32_e32 v5, -8, v4
	ds_load_b32 v5, v5
	s_wait_dscnt 0x0
	v_add_f32_e32 v3, v3, v5
.LBB40_12:
	s_or_b32 exec_lo, exec_lo, s3
.LBB40_13:
	s_delay_alu instid0(SALU_CYCLE_1) | instskip(NEXT) | instid1(SALU_CYCLE_1)
	s_or_b32 exec_lo, exec_lo, s2
	s_mov_b32 s2, exec_lo
	s_barrier_signal -1
	s_barrier_wait -1
	ds_store_b32 v4, v3
	s_wait_dscnt 0x0
	s_barrier_signal -1
	s_barrier_wait -1
	v_cmpx_lt_u32_e32 3, v0
	;; [unrolled: 26-line block ×3, first 2 shown]
	s_cbranch_execz .LBB40_21
; %bb.18:
	v_subrev_nc_u32_e32 v5, 32, v2
	s_mov_b32 s3, exec_lo
	ds_load_b32 v5, v5
	s_wait_dscnt 0x0
	v_cmpx_eq_u32_e64 v1, v5
	s_cbranch_execz .LBB40_20
; %bb.19:
	v_subrev_nc_u32_e32 v5, 32, v4
	ds_load_b32 v5, v5
	s_wait_dscnt 0x0
	v_add_f32_e32 v3, v3, v5
.LBB40_20:
	s_or_b32 exec_lo, exec_lo, s3
.LBB40_21:
	s_delay_alu instid0(SALU_CYCLE_1) | instskip(NEXT) | instid1(SALU_CYCLE_1)
	s_or_b32 exec_lo, exec_lo, s2
	s_mov_b32 s2, exec_lo
	s_barrier_signal -1
	s_barrier_wait -1
	ds_store_b32 v4, v3
	s_wait_dscnt 0x0
	s_barrier_signal -1
	s_barrier_wait -1
	v_cmpx_lt_u32_e32 15, v0
	s_cbranch_execz .LBB40_25
; %bb.22:
	v_subrev_nc_u32_e32 v5, 64, v2
	s_mov_b32 s3, exec_lo
	ds_load_b32 v5, v5
	s_wait_dscnt 0x0
	v_cmpx_eq_u32_e64 v1, v5
	s_cbranch_execz .LBB40_24
; %bb.23:
	v_subrev_nc_u32_e32 v5, 64, v4
	ds_load_b32 v5, v5
	s_wait_dscnt 0x0
	v_add_f32_e32 v3, v3, v5
.LBB40_24:
	s_or_b32 exec_lo, exec_lo, s3
.LBB40_25:
	s_delay_alu instid0(SALU_CYCLE_1) | instskip(NEXT) | instid1(SALU_CYCLE_1)
	s_or_b32 exec_lo, exec_lo, s2
	s_mov_b32 s2, exec_lo
	s_barrier_signal -1
	s_barrier_wait -1
	ds_store_b32 v4, v3
	s_wait_dscnt 0x0
	s_barrier_signal -1
	s_barrier_wait -1
	v_cmpx_lt_u32_e32 31, v0
	s_cbranch_execz .LBB40_29
; %bb.26:
	v_add_nc_u32_e32 v5, 0xffffff80, v2
	s_mov_b32 s3, exec_lo
	ds_load_b32 v5, v5
	s_wait_dscnt 0x0
	v_cmpx_eq_u32_e64 v1, v5
	s_cbranch_execz .LBB40_28
; %bb.27:
	v_add_nc_u32_e32 v5, 0xffffff80, v4
	ds_load_b32 v5, v5
	s_wait_dscnt 0x0
	v_add_f32_e32 v3, v3, v5
.LBB40_28:
	s_or_b32 exec_lo, exec_lo, s3
.LBB40_29:
	s_delay_alu instid0(SALU_CYCLE_1) | instskip(NEXT) | instid1(SALU_CYCLE_1)
	s_or_b32 exec_lo, exec_lo, s2
	s_mov_b32 s2, exec_lo
	s_barrier_signal -1
	s_barrier_wait -1
	ds_store_b32 v4, v3
	s_wait_dscnt 0x0
	s_barrier_signal -1
	s_barrier_wait -1
	v_cmpx_lt_u32_e32 63, v0
	s_cbranch_execz .LBB40_33
; %bb.30:
	v_add_nc_u32_e32 v5, 0xffffff00, v2
	s_mov_b32 s3, exec_lo
	ds_load_b32 v5, v5
	s_wait_dscnt 0x0
	v_cmpx_eq_u32_e64 v1, v5
	s_cbranch_execz .LBB40_32
; %bb.31:
	v_add_nc_u32_e32 v5, 0xffffff00, v4
	ds_load_b32 v5, v5
	s_wait_dscnt 0x0
	v_add_f32_e32 v3, v3, v5
.LBB40_32:
	s_or_b32 exec_lo, exec_lo, s3
.LBB40_33:
	s_delay_alu instid0(SALU_CYCLE_1)
	s_or_b32 exec_lo, exec_lo, s2
	s_load_b64 s[2:3], s[0:1], 0x28
	s_wait_xcnt 0x0
	s_mov_b32 s0, exec_lo
	s_barrier_signal -1
	s_barrier_wait -1
	ds_store_b32 v4, v3
	s_wait_dscnt 0x0
	s_barrier_signal -1
	s_barrier_wait -1
	v_cmpx_lt_u32_e32 0x7f, v0
	s_cbranch_execz .LBB40_37
; %bb.34:
	v_add_nc_u32_e32 v5, 0xfffffe00, v2
	s_mov_b32 s1, exec_lo
	ds_load_b32 v5, v5
	s_wait_dscnt 0x0
	v_cmpx_eq_u32_e64 v1, v5
	s_cbranch_execz .LBB40_36
; %bb.35:
	v_add_nc_u32_e32 v5, 0xfffffe00, v4
	ds_load_b32 v5, v5
	s_wait_dscnt 0x0
	v_add_f32_e32 v3, v3, v5
.LBB40_36:
	s_or_b32 exec_lo, exec_lo, s1
.LBB40_37:
	s_delay_alu instid0(SALU_CYCLE_1) | instskip(NEXT) | instid1(SALU_CYCLE_1)
	s_or_b32 exec_lo, exec_lo, s0
	s_mov_b32 s1, exec_lo
	s_barrier_signal -1
	s_barrier_wait -1
	ds_store_b32 v4, v3
	s_wait_dscnt 0x0
	s_barrier_signal -1
	s_barrier_wait -1
	v_cmpx_gt_u32_e32 0xff, v0
	s_cbranch_execz .LBB40_40
; %bb.38:
	ds_load_b32 v2, v2 offset:4
	v_cmp_lt_i32_e64 s0, -1, v1
	s_wait_dscnt 0x0
	v_cmp_ne_u32_e32 vcc_lo, v1, v2
	s_and_b32 s0, s0, vcc_lo
	s_delay_alu instid0(SALU_CYCLE_1)
	s_and_b32 exec_lo, exec_lo, s0
	s_cbranch_execz .LBB40_40
; %bb.39:
	v_mul_f32_e32 v2, s6, v3
	s_wait_kmcnt 0x0
	global_atomic_add_f32 v1, v2, s[2:3] scale_offset scope:SCOPE_DEV
.LBB40_40:
	s_wait_xcnt 0x0
	s_or_b32 exec_lo, exec_lo, s1
	v_cmp_eq_u32_e32 vcc_lo, 0xff, v0
	v_cmp_lt_i32_e64 s0, -1, v1
	s_and_b32 s0, vcc_lo, s0
	s_delay_alu instid0(SALU_CYCLE_1)
	s_and_saveexec_b32 s1, s0
	s_cbranch_execz .LBB40_42
; %bb.41:
	v_mul_f32_e32 v0, s6, v3
	s_wait_kmcnt 0x0
	global_atomic_add_f32 v1, v0, s[2:3] scale_offset scope:SCOPE_DEV
.LBB40_42:
	s_endpgm
	.section	.rodata,"a",@progbits
	.p2align	6, 0x0
	.amdhsa_kernel _ZN9rocsparseL23coomvn_aos_atomic_loopsILj256ELj1EiaaffEEvlNS_24const_host_device_scalarIT5_EEPKT1_PKT2_PKT3_PT4_21rocsparse_index_base_b
		.amdhsa_group_segment_fixed_size 2048
		.amdhsa_private_segment_fixed_size 0
		.amdhsa_kernarg_size 56
		.amdhsa_user_sgpr_count 2
		.amdhsa_user_sgpr_dispatch_ptr 0
		.amdhsa_user_sgpr_queue_ptr 0
		.amdhsa_user_sgpr_kernarg_segment_ptr 1
		.amdhsa_user_sgpr_dispatch_id 0
		.amdhsa_user_sgpr_kernarg_preload_length 0
		.amdhsa_user_sgpr_kernarg_preload_offset 0
		.amdhsa_user_sgpr_private_segment_size 0
		.amdhsa_wavefront_size32 1
		.amdhsa_uses_dynamic_stack 0
		.amdhsa_enable_private_segment 0
		.amdhsa_system_sgpr_workgroup_id_x 1
		.amdhsa_system_sgpr_workgroup_id_y 0
		.amdhsa_system_sgpr_workgroup_id_z 0
		.amdhsa_system_sgpr_workgroup_info 0
		.amdhsa_system_vgpr_workitem_id 0
		.amdhsa_next_free_vgpr 7
		.amdhsa_next_free_sgpr 12
		.amdhsa_named_barrier_count 0
		.amdhsa_reserve_vcc 1
		.amdhsa_float_round_mode_32 0
		.amdhsa_float_round_mode_16_64 0
		.amdhsa_float_denorm_mode_32 3
		.amdhsa_float_denorm_mode_16_64 3
		.amdhsa_fp16_overflow 0
		.amdhsa_memory_ordered 1
		.amdhsa_forward_progress 1
		.amdhsa_inst_pref_size 11
		.amdhsa_round_robin_scheduling 0
		.amdhsa_exception_fp_ieee_invalid_op 0
		.amdhsa_exception_fp_denorm_src 0
		.amdhsa_exception_fp_ieee_div_zero 0
		.amdhsa_exception_fp_ieee_overflow 0
		.amdhsa_exception_fp_ieee_underflow 0
		.amdhsa_exception_fp_ieee_inexact 0
		.amdhsa_exception_int_div_zero 0
	.end_amdhsa_kernel
	.section	.text._ZN9rocsparseL23coomvn_aos_atomic_loopsILj256ELj1EiaaffEEvlNS_24const_host_device_scalarIT5_EEPKT1_PKT2_PKT3_PT4_21rocsparse_index_base_b,"axG",@progbits,_ZN9rocsparseL23coomvn_aos_atomic_loopsILj256ELj1EiaaffEEvlNS_24const_host_device_scalarIT5_EEPKT1_PKT2_PKT3_PT4_21rocsparse_index_base_b,comdat
.Lfunc_end40:
	.size	_ZN9rocsparseL23coomvn_aos_atomic_loopsILj256ELj1EiaaffEEvlNS_24const_host_device_scalarIT5_EEPKT1_PKT2_PKT3_PT4_21rocsparse_index_base_b, .Lfunc_end40-_ZN9rocsparseL23coomvn_aos_atomic_loopsILj256ELj1EiaaffEEvlNS_24const_host_device_scalarIT5_EEPKT1_PKT2_PKT3_PT4_21rocsparse_index_base_b
                                        ; -- End function
	.set _ZN9rocsparseL23coomvn_aos_atomic_loopsILj256ELj1EiaaffEEvlNS_24const_host_device_scalarIT5_EEPKT1_PKT2_PKT3_PT4_21rocsparse_index_base_b.num_vgpr, 7
	.set _ZN9rocsparseL23coomvn_aos_atomic_loopsILj256ELj1EiaaffEEvlNS_24const_host_device_scalarIT5_EEPKT1_PKT2_PKT3_PT4_21rocsparse_index_base_b.num_agpr, 0
	.set _ZN9rocsparseL23coomvn_aos_atomic_loopsILj256ELj1EiaaffEEvlNS_24const_host_device_scalarIT5_EEPKT1_PKT2_PKT3_PT4_21rocsparse_index_base_b.numbered_sgpr, 12
	.set _ZN9rocsparseL23coomvn_aos_atomic_loopsILj256ELj1EiaaffEEvlNS_24const_host_device_scalarIT5_EEPKT1_PKT2_PKT3_PT4_21rocsparse_index_base_b.num_named_barrier, 0
	.set _ZN9rocsparseL23coomvn_aos_atomic_loopsILj256ELj1EiaaffEEvlNS_24const_host_device_scalarIT5_EEPKT1_PKT2_PKT3_PT4_21rocsparse_index_base_b.private_seg_size, 0
	.set _ZN9rocsparseL23coomvn_aos_atomic_loopsILj256ELj1EiaaffEEvlNS_24const_host_device_scalarIT5_EEPKT1_PKT2_PKT3_PT4_21rocsparse_index_base_b.uses_vcc, 1
	.set _ZN9rocsparseL23coomvn_aos_atomic_loopsILj256ELj1EiaaffEEvlNS_24const_host_device_scalarIT5_EEPKT1_PKT2_PKT3_PT4_21rocsparse_index_base_b.uses_flat_scratch, 0
	.set _ZN9rocsparseL23coomvn_aos_atomic_loopsILj256ELj1EiaaffEEvlNS_24const_host_device_scalarIT5_EEPKT1_PKT2_PKT3_PT4_21rocsparse_index_base_b.has_dyn_sized_stack, 0
	.set _ZN9rocsparseL23coomvn_aos_atomic_loopsILj256ELj1EiaaffEEvlNS_24const_host_device_scalarIT5_EEPKT1_PKT2_PKT3_PT4_21rocsparse_index_base_b.has_recursion, 0
	.set _ZN9rocsparseL23coomvn_aos_atomic_loopsILj256ELj1EiaaffEEvlNS_24const_host_device_scalarIT5_EEPKT1_PKT2_PKT3_PT4_21rocsparse_index_base_b.has_indirect_call, 0
	.section	.AMDGPU.csdata,"",@progbits
; Kernel info:
; codeLenInByte = 1304
; TotalNumSgprs: 14
; NumVgprs: 7
; ScratchSize: 0
; MemoryBound: 0
; FloatMode: 240
; IeeeMode: 1
; LDSByteSize: 2048 bytes/workgroup (compile time only)
; SGPRBlocks: 0
; VGPRBlocks: 0
; NumSGPRsForWavesPerEU: 14
; NumVGPRsForWavesPerEU: 7
; NamedBarCnt: 0
; Occupancy: 16
; WaveLimiterHint : 1
; COMPUTE_PGM_RSRC2:SCRATCH_EN: 0
; COMPUTE_PGM_RSRC2:USER_SGPR: 2
; COMPUTE_PGM_RSRC2:TRAP_HANDLER: 0
; COMPUTE_PGM_RSRC2:TGID_X_EN: 1
; COMPUTE_PGM_RSRC2:TGID_Y_EN: 0
; COMPUTE_PGM_RSRC2:TGID_Z_EN: 0
; COMPUTE_PGM_RSRC2:TIDIG_COMP_CNT: 0
	.section	.text._ZN9rocsparseL17coomvt_aos_kernelILj1024EiaaffEEv20rocsparse_operation_lNS_24const_host_device_scalarIT4_EEPKT0_PKT1_PKT2_PT3_21rocsparse_index_base_b,"axG",@progbits,_ZN9rocsparseL17coomvt_aos_kernelILj1024EiaaffEEv20rocsparse_operation_lNS_24const_host_device_scalarIT4_EEPKT0_PKT1_PKT2_PT3_21rocsparse_index_base_b,comdat
	.globl	_ZN9rocsparseL17coomvt_aos_kernelILj1024EiaaffEEv20rocsparse_operation_lNS_24const_host_device_scalarIT4_EEPKT0_PKT1_PKT2_PT3_21rocsparse_index_base_b ; -- Begin function _ZN9rocsparseL17coomvt_aos_kernelILj1024EiaaffEEv20rocsparse_operation_lNS_24const_host_device_scalarIT4_EEPKT0_PKT1_PKT2_PT3_21rocsparse_index_base_b
	.p2align	8
	.type	_ZN9rocsparseL17coomvt_aos_kernelILj1024EiaaffEEv20rocsparse_operation_lNS_24const_host_device_scalarIT4_EEPKT0_PKT1_PKT2_PT3_21rocsparse_index_base_b,@function
_ZN9rocsparseL17coomvt_aos_kernelILj1024EiaaffEEv20rocsparse_operation_lNS_24const_host_device_scalarIT4_EEPKT0_PKT1_PKT2_PT3_21rocsparse_index_base_b: ; @_ZN9rocsparseL17coomvt_aos_kernelILj1024EiaaffEEv20rocsparse_operation_lNS_24const_host_device_scalarIT4_EEPKT0_PKT1_PKT2_PT3_21rocsparse_index_base_b
; %bb.0:
	s_clause 0x1
	s_load_b64 s[2:3], s[0:1], 0x38
	s_load_b128 s[4:7], s[0:1], 0x8
	s_wait_kmcnt 0x0
	s_bitcmp1_b32 s3, 0
	s_cselect_b32 s3, -1, 0
	s_delay_alu instid0(SALU_CYCLE_1)
	s_and_b32 vcc_lo, exec_lo, s3
	s_cbranch_vccnz .LBB41_2
; %bb.1:
	s_load_b32 s6, s[6:7], 0x0
.LBB41_2:
	s_wait_kmcnt 0x0
	s_cmp_eq_f32 s6, 0
	s_cbranch_scc1 .LBB41_5
; %bb.3:
	s_load_b32 s3, s[0:1], 0x4c
	s_bfe_u32 s7, ttmp6, 0x4000c
	s_and_b32 s8, ttmp6, 15
	s_add_co_i32 s7, s7, 1
	s_getreg_b32 s9, hwreg(HW_REG_IB_STS2, 6, 4)
	s_mul_i32 s7, ttmp9, s7
	v_mov_b32_e32 v1, 0
	s_add_co_i32 s8, s8, s7
	s_wait_kmcnt 0x0
	s_and_b32 s3, s3, 0xffff
	s_cmp_eq_u32 s9, 0
	s_cselect_b32 s7, ttmp9, s8
	s_delay_alu instid0(SALU_CYCLE_1) | instskip(SKIP_1) | instid1(VALU_DEP_1)
	v_mad_u32 v0, s7, s3, v0
	s_mov_b32 s3, exec_lo
	v_cmpx_gt_i64_e64 s[4:5], v[0:1]
	s_cbranch_execz .LBB41_5
; %bb.4:
	s_load_b256 s[8:15], s[0:1], 0x18
	s_wait_kmcnt 0x0
	v_lshl_add_u64 v[2:3], v[0:1], 3, s[8:9]
	v_add_nc_u64_e32 v[0:1], s[10:11], v[0:1]
	global_load_b64 v[2:3], v[2:3], off
	global_load_i8 v0, v[0:1], off
	s_wait_loadcnt 0x1
	s_wait_xcnt 0x0
	v_subrev_nc_u32_e32 v1, s2, v2
	v_subrev_nc_u32_e32 v2, s2, v3
	s_wait_loadcnt 0x0
	v_cvt_f32_i32_e32 v0, v0
	global_load_i8 v1, v1, s[12:13]
	v_mul_f32_e32 v0, s6, v0
	s_wait_loadcnt 0x0
	v_cvt_f32_i32_e32 v1, v1
	s_delay_alu instid0(VALU_DEP_1)
	v_mul_f32_e32 v0, v0, v1
	global_atomic_add_f32 v2, v0, s[14:15] scale_offset scope:SCOPE_DEV
.LBB41_5:
	s_endpgm
	.section	.rodata,"a",@progbits
	.p2align	6, 0x0
	.amdhsa_kernel _ZN9rocsparseL17coomvt_aos_kernelILj1024EiaaffEEv20rocsparse_operation_lNS_24const_host_device_scalarIT4_EEPKT0_PKT1_PKT2_PT3_21rocsparse_index_base_b
		.amdhsa_group_segment_fixed_size 0
		.amdhsa_private_segment_fixed_size 0
		.amdhsa_kernarg_size 320
		.amdhsa_user_sgpr_count 2
		.amdhsa_user_sgpr_dispatch_ptr 0
		.amdhsa_user_sgpr_queue_ptr 0
		.amdhsa_user_sgpr_kernarg_segment_ptr 1
		.amdhsa_user_sgpr_dispatch_id 0
		.amdhsa_user_sgpr_kernarg_preload_length 0
		.amdhsa_user_sgpr_kernarg_preload_offset 0
		.amdhsa_user_sgpr_private_segment_size 0
		.amdhsa_wavefront_size32 1
		.amdhsa_uses_dynamic_stack 0
		.amdhsa_enable_private_segment 0
		.amdhsa_system_sgpr_workgroup_id_x 1
		.amdhsa_system_sgpr_workgroup_id_y 0
		.amdhsa_system_sgpr_workgroup_id_z 0
		.amdhsa_system_sgpr_workgroup_info 0
		.amdhsa_system_vgpr_workitem_id 0
		.amdhsa_next_free_vgpr 4
		.amdhsa_next_free_sgpr 16
		.amdhsa_named_barrier_count 0
		.amdhsa_reserve_vcc 1
		.amdhsa_float_round_mode_32 0
		.amdhsa_float_round_mode_16_64 0
		.amdhsa_float_denorm_mode_32 3
		.amdhsa_float_denorm_mode_16_64 3
		.amdhsa_fp16_overflow 0
		.amdhsa_memory_ordered 1
		.amdhsa_forward_progress 1
		.amdhsa_inst_pref_size 3
		.amdhsa_round_robin_scheduling 0
		.amdhsa_exception_fp_ieee_invalid_op 0
		.amdhsa_exception_fp_denorm_src 0
		.amdhsa_exception_fp_ieee_div_zero 0
		.amdhsa_exception_fp_ieee_overflow 0
		.amdhsa_exception_fp_ieee_underflow 0
		.amdhsa_exception_fp_ieee_inexact 0
		.amdhsa_exception_int_div_zero 0
	.end_amdhsa_kernel
	.section	.text._ZN9rocsparseL17coomvt_aos_kernelILj1024EiaaffEEv20rocsparse_operation_lNS_24const_host_device_scalarIT4_EEPKT0_PKT1_PKT2_PT3_21rocsparse_index_base_b,"axG",@progbits,_ZN9rocsparseL17coomvt_aos_kernelILj1024EiaaffEEv20rocsparse_operation_lNS_24const_host_device_scalarIT4_EEPKT0_PKT1_PKT2_PT3_21rocsparse_index_base_b,comdat
.Lfunc_end41:
	.size	_ZN9rocsparseL17coomvt_aos_kernelILj1024EiaaffEEv20rocsparse_operation_lNS_24const_host_device_scalarIT4_EEPKT0_PKT1_PKT2_PT3_21rocsparse_index_base_b, .Lfunc_end41-_ZN9rocsparseL17coomvt_aos_kernelILj1024EiaaffEEv20rocsparse_operation_lNS_24const_host_device_scalarIT4_EEPKT0_PKT1_PKT2_PT3_21rocsparse_index_base_b
                                        ; -- End function
	.set _ZN9rocsparseL17coomvt_aos_kernelILj1024EiaaffEEv20rocsparse_operation_lNS_24const_host_device_scalarIT4_EEPKT0_PKT1_PKT2_PT3_21rocsparse_index_base_b.num_vgpr, 4
	.set _ZN9rocsparseL17coomvt_aos_kernelILj1024EiaaffEEv20rocsparse_operation_lNS_24const_host_device_scalarIT4_EEPKT0_PKT1_PKT2_PT3_21rocsparse_index_base_b.num_agpr, 0
	.set _ZN9rocsparseL17coomvt_aos_kernelILj1024EiaaffEEv20rocsparse_operation_lNS_24const_host_device_scalarIT4_EEPKT0_PKT1_PKT2_PT3_21rocsparse_index_base_b.numbered_sgpr, 16
	.set _ZN9rocsparseL17coomvt_aos_kernelILj1024EiaaffEEv20rocsparse_operation_lNS_24const_host_device_scalarIT4_EEPKT0_PKT1_PKT2_PT3_21rocsparse_index_base_b.num_named_barrier, 0
	.set _ZN9rocsparseL17coomvt_aos_kernelILj1024EiaaffEEv20rocsparse_operation_lNS_24const_host_device_scalarIT4_EEPKT0_PKT1_PKT2_PT3_21rocsparse_index_base_b.private_seg_size, 0
	.set _ZN9rocsparseL17coomvt_aos_kernelILj1024EiaaffEEv20rocsparse_operation_lNS_24const_host_device_scalarIT4_EEPKT0_PKT1_PKT2_PT3_21rocsparse_index_base_b.uses_vcc, 1
	.set _ZN9rocsparseL17coomvt_aos_kernelILj1024EiaaffEEv20rocsparse_operation_lNS_24const_host_device_scalarIT4_EEPKT0_PKT1_PKT2_PT3_21rocsparse_index_base_b.uses_flat_scratch, 0
	.set _ZN9rocsparseL17coomvt_aos_kernelILj1024EiaaffEEv20rocsparse_operation_lNS_24const_host_device_scalarIT4_EEPKT0_PKT1_PKT2_PT3_21rocsparse_index_base_b.has_dyn_sized_stack, 0
	.set _ZN9rocsparseL17coomvt_aos_kernelILj1024EiaaffEEv20rocsparse_operation_lNS_24const_host_device_scalarIT4_EEPKT0_PKT1_PKT2_PT3_21rocsparse_index_base_b.has_recursion, 0
	.set _ZN9rocsparseL17coomvt_aos_kernelILj1024EiaaffEEv20rocsparse_operation_lNS_24const_host_device_scalarIT4_EEPKT0_PKT1_PKT2_PT3_21rocsparse_index_base_b.has_indirect_call, 0
	.section	.AMDGPU.csdata,"",@progbits
; Kernel info:
; codeLenInByte = 272
; TotalNumSgprs: 18
; NumVgprs: 4
; ScratchSize: 0
; MemoryBound: 0
; FloatMode: 240
; IeeeMode: 1
; LDSByteSize: 0 bytes/workgroup (compile time only)
; SGPRBlocks: 0
; VGPRBlocks: 0
; NumSGPRsForWavesPerEU: 18
; NumVGPRsForWavesPerEU: 4
; NamedBarCnt: 0
; Occupancy: 16
; WaveLimiterHint : 1
; COMPUTE_PGM_RSRC2:SCRATCH_EN: 0
; COMPUTE_PGM_RSRC2:USER_SGPR: 2
; COMPUTE_PGM_RSRC2:TRAP_HANDLER: 0
; COMPUTE_PGM_RSRC2:TGID_X_EN: 1
; COMPUTE_PGM_RSRC2:TGID_Y_EN: 0
; COMPUTE_PGM_RSRC2:TGID_Z_EN: 0
; COMPUTE_PGM_RSRC2:TIDIG_COMP_CNT: 0
	.section	.text._ZN9rocsparseL26coomvn_aos_segmented_loopsILj256EiaaffEEvlT0_NS_24const_host_device_scalarIT4_EEPKS1_PKT1_PKT2_PT3_PS1_PS3_21rocsparse_index_base_b,"axG",@progbits,_ZN9rocsparseL26coomvn_aos_segmented_loopsILj256EiaaffEEvlT0_NS_24const_host_device_scalarIT4_EEPKS1_PKT1_PKT2_PT3_PS1_PS3_21rocsparse_index_base_b,comdat
	.globl	_ZN9rocsparseL26coomvn_aos_segmented_loopsILj256EiaaffEEvlT0_NS_24const_host_device_scalarIT4_EEPKS1_PKT1_PKT2_PT3_PS1_PS3_21rocsparse_index_base_b ; -- Begin function _ZN9rocsparseL26coomvn_aos_segmented_loopsILj256EiaaffEEvlT0_NS_24const_host_device_scalarIT4_EEPKS1_PKT1_PKT2_PT3_PS1_PS3_21rocsparse_index_base_b
	.p2align	8
	.type	_ZN9rocsparseL26coomvn_aos_segmented_loopsILj256EiaaffEEvlT0_NS_24const_host_device_scalarIT4_EEPKS1_PKT1_PKT2_PT3_PS1_PS3_21rocsparse_index_base_b,@function
_ZN9rocsparseL26coomvn_aos_segmented_loopsILj256EiaaffEEvlT0_NS_24const_host_device_scalarIT4_EEPKS1_PKT1_PKT2_PT3_PS1_PS3_21rocsparse_index_base_b: ; @_ZN9rocsparseL26coomvn_aos_segmented_loopsILj256EiaaffEEvlT0_NS_24const_host_device_scalarIT4_EEPKS1_PKT1_PKT2_PT3_PS1_PS3_21rocsparse_index_base_b
; %bb.0:
	s_clause 0x1
	s_load_b64 s[26:27], s[0:1], 0x48
	s_load_b64 s[24:25], s[0:1], 0x10
	s_wait_kmcnt 0x0
	s_bitcmp1_b32 s27, 0
	s_cselect_b32 s2, -1, 0
	s_delay_alu instid0(SALU_CYCLE_1)
	s_and_b32 vcc_lo, exec_lo, s2
	s_cbranch_vccnz .LBB42_2
; %bb.1:
	s_load_b32 s24, s[24:25], 0x0
.LBB42_2:
	s_wait_kmcnt 0x0
	s_cmp_eq_f32 s24, 0
	s_cbranch_scc1 .LBB42_89
; %bb.3:
	s_clause 0x1
	s_load_b96 s[20:22], s[0:1], 0x0
	s_load_b128 s[12:15], s[0:1], 0x18
	s_bfe_u32 s2, ttmp6, 0x4000c
	s_load_b64 s[30:31], s[0:1], 0x28
	s_add_co_i32 s2, s2, 1
	s_and_b32 s3, ttmp6, 15
	s_mul_i32 s2, ttmp9, s2
	s_getreg_b32 s4, hwreg(HW_REG_IB_STS2, 6, 4)
	s_add_co_i32 s3, s3, s2
	s_cmp_eq_u32 s4, 0
	v_dual_mov_b32 v3, 0 :: v_dual_mov_b32 v6, -1
	s_cselect_b32 s23, ttmp9, s3
	s_delay_alu instid0(VALU_DEP_1) | instskip(SKIP_2) | instid1(SALU_CYCLE_1)
	v_mov_b32_e32 v9, v3
	s_wait_kmcnt 0x0
	s_mul_i32 s2, s23, s22
	v_lshl_or_b32 v2, s2, 8, v0
	s_mov_b32 s2, exec_lo
	s_delay_alu instid0(VALU_DEP_1)
	v_lshl_add_u64 v[4:5], v[2:3], 3, s[12:13]
	v_cmpx_gt_i64_e64 s[20:21], v[2:3]
	s_cbranch_execz .LBB42_5
; %bb.4:
	global_load_b64 v[6:7], v[4:5], off th:TH_LOAD_NT
	s_ashr_i32 s27, s26, 31
	v_add_nc_u64_e32 v[10:11], s[14:15], v[2:3]
	s_sub_nc_u64 s[4:5], 0, s[26:27]
	s_wait_loadcnt 0x0
	v_dual_mov_b32 v8, v7 :: v_dual_ashrrev_i32 v9, 31, v7
	v_subrev_nc_u32_e32 v6, s26, v6
	s_delay_alu instid0(VALU_DEP_2) | instskip(NEXT) | instid1(VALU_DEP_1)
	v_add_nc_u64_e32 v[8:9], s[30:31], v[8:9]
	v_add_nc_u64_e32 v[8:9], s[4:5], v[8:9]
	global_load_i8 v1, v[10:11], off th:TH_LOAD_NT
	global_load_i8 v7, v[8:9], off
	s_wait_loadcnt 0x1
	v_cvt_f32_i32_e32 v1, v1
	s_wait_loadcnt 0x0
	v_cvt_f32_i32_e32 v7, v7
	s_delay_alu instid0(VALU_DEP_1)
	v_mul_f32_e32 v9, v1, v7
.LBB42_5:
	s_or_b32 exec_lo, exec_lo, s2
	v_lshlrev_b32_e32 v1, 2, v0
	v_cmp_eq_u32_e64 s2, 0, v0
	v_cmp_ne_u32_e64 s3, 0, v0
	s_delay_alu instid0(VALU_DEP_3)
	v_or_b32_e32 v7, 0x400, v1
	v_add_nc_u32_e32 v8, -4, v1
	ds_store_2addr_stride64_b32 v1, v6, v9 offset1:4
	s_wait_dscnt 0x0
	s_barrier_signal -1
	s_barrier_wait -1
	s_and_saveexec_b32 s4, s3
	s_cbranch_execz .LBB42_9
; %bb.6:
	ds_load_b32 v10, v8
	s_mov_b32 s5, exec_lo
	s_wait_dscnt 0x0
	v_cmpx_eq_u32_e64 v6, v10
	s_cbranch_execz .LBB42_8
; %bb.7:
	v_add_nc_u32_e32 v10, -4, v7
	ds_load_b32 v10, v10
	s_wait_dscnt 0x0
	v_add_f32_e32 v9, v9, v10
.LBB42_8:
	s_or_b32 exec_lo, exec_lo, s5
.LBB42_9:
	s_delay_alu instid0(SALU_CYCLE_1)
	s_or_b32 exec_lo, exec_lo, s4
	v_cmp_lt_u32_e64 s4, 1, v0
	v_add_nc_u32_e32 v10, -8, v1
	s_barrier_signal -1
	s_barrier_wait -1
	ds_store_b32 v7, v9
	s_wait_dscnt 0x0
	s_barrier_signal -1
	s_barrier_wait -1
	s_and_saveexec_b32 s5, s4
	s_cbranch_execz .LBB42_13
; %bb.10:
	ds_load_b32 v11, v10
	s_mov_b32 s6, exec_lo
	s_wait_dscnt 0x0
	v_cmpx_eq_u32_e64 v6, v11
	s_cbranch_execz .LBB42_12
; %bb.11:
	v_add_nc_u32_e32 v11, -8, v7
	ds_load_b32 v11, v11
	s_wait_dscnt 0x0
	v_add_f32_e32 v9, v9, v11
.LBB42_12:
	s_or_b32 exec_lo, exec_lo, s6
.LBB42_13:
	s_delay_alu instid0(SALU_CYCLE_1)
	s_or_b32 exec_lo, exec_lo, s5
	v_cmp_lt_u32_e64 s5, 3, v0
	v_add_nc_u32_e32 v11, -16, v1
	s_barrier_signal -1
	s_barrier_wait -1
	ds_store_b32 v7, v9
	s_wait_dscnt 0x0
	s_barrier_signal -1
	s_barrier_wait -1
	s_and_saveexec_b32 s6, s5
	s_cbranch_execz .LBB42_17
; %bb.14:
	ds_load_b32 v12, v11
	s_mov_b32 s7, exec_lo
	s_wait_dscnt 0x0
	v_cmpx_eq_u32_e64 v6, v12
	s_cbranch_execz .LBB42_16
; %bb.15:
	v_add_nc_u32_e32 v12, -16, v7
	ds_load_b32 v12, v12
	s_wait_dscnt 0x0
	v_add_f32_e32 v9, v9, v12
.LBB42_16:
	s_or_b32 exec_lo, exec_lo, s7
.LBB42_17:
	s_delay_alu instid0(SALU_CYCLE_1)
	s_or_b32 exec_lo, exec_lo, s6
	v_cmp_lt_u32_e64 s6, 7, v0
	v_subrev_nc_u32_e32 v12, 32, v1
	s_barrier_signal -1
	s_barrier_wait -1
	ds_store_b32 v7, v9
	s_wait_dscnt 0x0
	s_barrier_signal -1
	s_barrier_wait -1
	s_and_saveexec_b32 s7, s6
	s_cbranch_execz .LBB42_21
; %bb.18:
	ds_load_b32 v13, v12
	s_mov_b32 s8, exec_lo
	s_wait_dscnt 0x0
	v_cmpx_eq_u32_e64 v6, v13
	s_cbranch_execz .LBB42_20
; %bb.19:
	v_subrev_nc_u32_e32 v13, 32, v7
	ds_load_b32 v13, v13
	s_wait_dscnt 0x0
	v_add_f32_e32 v9, v9, v13
.LBB42_20:
	s_or_b32 exec_lo, exec_lo, s8
.LBB42_21:
	s_delay_alu instid0(SALU_CYCLE_1)
	s_or_b32 exec_lo, exec_lo, s7
	v_cmp_lt_u32_e64 s7, 15, v0
	v_subrev_nc_u32_e32 v13, 64, v1
	s_barrier_signal -1
	s_barrier_wait -1
	ds_store_b32 v7, v9
	s_wait_dscnt 0x0
	s_barrier_signal -1
	s_barrier_wait -1
	s_and_saveexec_b32 s8, s7
	s_cbranch_execz .LBB42_25
; %bb.22:
	ds_load_b32 v14, v13
	s_mov_b32 s9, exec_lo
	s_wait_dscnt 0x0
	v_cmpx_eq_u32_e64 v6, v14
	s_cbranch_execz .LBB42_24
; %bb.23:
	v_subrev_nc_u32_e32 v14, 64, v7
	ds_load_b32 v14, v14
	s_wait_dscnt 0x0
	v_add_f32_e32 v9, v9, v14
.LBB42_24:
	s_or_b32 exec_lo, exec_lo, s9
.LBB42_25:
	s_delay_alu instid0(SALU_CYCLE_1)
	s_or_b32 exec_lo, exec_lo, s8
	v_cmp_lt_u32_e64 s8, 31, v0
	v_add_nc_u32_e32 v14, 0xffffff80, v1
	s_barrier_signal -1
	s_barrier_wait -1
	ds_store_b32 v7, v9
	s_wait_dscnt 0x0
	s_barrier_signal -1
	s_barrier_wait -1
	s_and_saveexec_b32 s9, s8
	s_cbranch_execz .LBB42_29
; %bb.26:
	ds_load_b32 v15, v14
	s_mov_b32 s10, exec_lo
	s_wait_dscnt 0x0
	v_cmpx_eq_u32_e64 v6, v15
	s_cbranch_execz .LBB42_28
; %bb.27:
	v_add_nc_u32_e32 v15, 0xffffff80, v7
	ds_load_b32 v15, v15
	s_wait_dscnt 0x0
	v_add_f32_e32 v9, v9, v15
.LBB42_28:
	s_or_b32 exec_lo, exec_lo, s10
.LBB42_29:
	s_delay_alu instid0(SALU_CYCLE_1)
	s_or_b32 exec_lo, exec_lo, s9
	v_cmp_lt_u32_e64 s9, 63, v0
	v_add_nc_u32_e32 v15, 0xffffff00, v1
	s_barrier_signal -1
	s_barrier_wait -1
	ds_store_b32 v7, v9
	s_wait_dscnt 0x0
	s_barrier_signal -1
	s_barrier_wait -1
	s_and_saveexec_b32 s10, s9
	s_cbranch_execz .LBB42_33
; %bb.30:
	ds_load_b32 v16, v15
	s_mov_b32 s11, exec_lo
	s_wait_dscnt 0x0
	v_cmpx_eq_u32_e64 v6, v16
	s_cbranch_execz .LBB42_32
; %bb.31:
	v_add_nc_u32_e32 v16, 0xffffff00, v7
	ds_load_b32 v16, v16
	s_wait_dscnt 0x0
	v_add_f32_e32 v9, v9, v16
.LBB42_32:
	s_or_b32 exec_lo, exec_lo, s11
.LBB42_33:
	s_delay_alu instid0(SALU_CYCLE_1)
	s_or_b32 exec_lo, exec_lo, s10
	s_load_b64 s[28:29], s[0:1], 0x30
	v_cmp_lt_u32_e64 s10, 0x7f, v0
	v_add_nc_u32_e32 v16, 0xfffffe00, v1
	s_barrier_signal -1
	s_barrier_wait -1
	ds_store_b32 v7, v9
	s_wait_dscnt 0x0
	s_barrier_signal -1
	s_barrier_wait -1
	s_and_saveexec_b32 s11, s10
	s_cbranch_execz .LBB42_37
; %bb.34:
	ds_load_b32 v17, v16
	s_mov_b32 s12, exec_lo
	s_wait_dscnt 0x0
	v_cmpx_eq_u32_e64 v6, v17
	s_cbranch_execz .LBB42_36
; %bb.35:
	v_add_nc_u32_e32 v17, 0xfffffe00, v7
	ds_load_b32 v17, v17
	s_wait_dscnt 0x0
	v_add_f32_e32 v9, v9, v17
.LBB42_36:
	s_or_b32 exec_lo, exec_lo, s12
.LBB42_37:
	s_delay_alu instid0(SALU_CYCLE_1)
	s_or_b32 exec_lo, exec_lo, s11
	v_cmp_gt_u32_e64 s11, 0xff, v0
	s_barrier_signal -1
	s_barrier_wait -1
	ds_store_b32 v7, v9
	s_wait_dscnt 0x0
	s_barrier_signal -1
	s_barrier_wait -1
	s_and_saveexec_b32 s13, s11
	s_cbranch_execz .LBB42_40
; %bb.38:
	ds_load_b32 v17, v1 offset:4
	v_cmp_lt_i32_e64 s12, -1, v6
	s_wait_dscnt 0x0
	v_cmp_ne_u32_e32 vcc_lo, v6, v17
	s_and_b32 s12, s12, vcc_lo
	s_delay_alu instid0(SALU_CYCLE_1)
	s_and_b32 exec_lo, exec_lo, s12
	s_cbranch_execz .LBB42_40
; %bb.39:
	s_wait_kmcnt 0x0
	global_load_b32 v17, v6, s[28:29] scale_offset
	s_wait_loadcnt 0x0
	v_fmac_f32_e32 v17, s24, v9
	global_store_b32 v6, v17, s[28:29] scale_offset
.LBB42_40:
	s_wait_xcnt 0x0
	s_or_b32 exec_lo, exec_lo, s13
	s_load_b128 s[16:19], s[0:1], 0x38
	s_cmp_lt_i32 s22, 2
	s_cbranch_scc1 .LBB42_87
; %bb.41:
	v_add_nc_u64_e32 v[2:3], 0x100, v[2:3]
	v_add_nc_u64_e32 v[4:5], 0x800, v[4:5]
	s_ashr_i32 s27, s26, 31
	v_dual_add_nc_u32 v17, -4, v7 :: v_dual_add_nc_u32 v18, -8, v7
	v_dual_add_nc_u32 v19, -16, v7 :: v_dual_mov_b32 v25, 0
	v_subrev_nc_u32_e32 v20, 32, v7
	v_subrev_nc_u32_e32 v21, 64, v7
	v_add_nc_u32_e32 v22, 0xffffff80, v7
	v_add_nc_u32_e32 v23, 0xffffff00, v7
	;; [unrolled: 1-line block ×3, first 2 shown]
	s_wait_xcnt 0x0
	s_sub_nc_u64 s[0:1], 0, s[26:27]
	s_delay_alu instid0(SALU_CYCLE_1)
	s_add_nc_u64 s[12:13], s[30:31], s[0:1]
	s_add_co_i32 s1, s22, -1
	s_branch .LBB42_43
.LBB42_42:                              ;   in Loop: Header=BB42_43 Depth=1
	s_wait_xcnt 0x0
	s_or_b32 exec_lo, exec_lo, s22
	v_add_nc_u64_e32 v[2:3], 0x100, v[2:3]
	v_add_nc_u64_e32 v[4:5], 0x800, v[4:5]
	s_add_co_i32 s1, s1, -1
	s_delay_alu instid0(SALU_CYCLE_1)
	s_cmp_eq_u32 s1, 0
	s_cbranch_scc1 .LBB42_87
.LBB42_43:                              ; =>This Inner Loop Header: Depth=1
	v_dual_mov_b32 v6, -1 :: v_dual_mov_b32 v9, 0
	s_mov_b32 s0, exec_lo
	v_cmpx_gt_i64_e64 s[20:21], v[2:3]
	s_cbranch_execz .LBB42_45
; %bb.44:                               ;   in Loop: Header=BB42_43 Depth=1
	global_load_b64 v[26:27], v[4:5], off th:TH_LOAD_NT
	v_add_nc_u64_e32 v[28:29], s[14:15], v[2:3]
	global_load_i8 v6, v[28:29], off th:TH_LOAD_NT
	s_wait_loadcnt 0x1
	global_load_i8 v9, v27, s[12:13]
	s_wait_loadcnt 0x1
	s_wait_xcnt 0x0
	v_cvt_f32_i32_e32 v27, v6
	s_wait_loadcnt 0x0
	v_cvt_f32_i32_e32 v9, v9
	v_subrev_nc_u32_e32 v6, s26, v26
	s_delay_alu instid0(VALU_DEP_2)
	v_mul_f32_e32 v9, v27, v9
.LBB42_45:                              ;   in Loop: Header=BB42_43 Depth=1
	s_or_b32 exec_lo, exec_lo, s0
	s_and_saveexec_b32 s0, s2
	s_cbranch_execz .LBB42_52
; %bb.46:                               ;   in Loop: Header=BB42_43 Depth=1
	ds_load_b32 v26, v25 offset:1020
	s_mov_b32 s22, exec_lo
	s_wait_dscnt 0x0
	v_cmpx_ne_u32_e64 v6, v26
	s_xor_b32 s22, exec_lo, s22
	s_cbranch_execz .LBB42_49
; %bb.47:                               ;   in Loop: Header=BB42_43 Depth=1
	v_cmp_gt_i32_e32 vcc_lo, 0, v26
	s_cbranch_vccnz .LBB42_49
; %bb.48:                               ;   in Loop: Header=BB42_43 Depth=1
	s_wait_kmcnt 0x0
	global_load_b32 v27, v26, s[28:29] scale_offset
	ds_load_b32 v28, v25 offset:2044
	s_wait_loadcnt_dscnt 0x0
	v_fmac_f32_e32 v27, s24, v28
	global_store_b32 v26, v27, s[28:29] scale_offset
.LBB42_49:                              ;   in Loop: Header=BB42_43 Depth=1
	s_wait_xcnt 0x0
	s_and_not1_saveexec_b32 s22, s22
	s_cbranch_execz .LBB42_51
; %bb.50:                               ;   in Loop: Header=BB42_43 Depth=1
	ds_load_b32 v26, v25 offset:2044
	s_wait_dscnt 0x0
	v_add_f32_e32 v9, v9, v26
.LBB42_51:                              ;   in Loop: Header=BB42_43 Depth=1
	s_or_b32 exec_lo, exec_lo, s22
.LBB42_52:                              ;   in Loop: Header=BB42_43 Depth=1
	s_delay_alu instid0(SALU_CYCLE_1)
	s_or_b32 exec_lo, exec_lo, s0
	s_wait_storecnt 0x0
	s_barrier_signal -1
	s_barrier_wait -1
	ds_store_b32 v1, v6
	ds_store_b32 v7, v9
	s_wait_dscnt 0x0
	s_barrier_signal -1
	s_barrier_wait -1
	s_and_saveexec_b32 s0, s3
	s_cbranch_execz .LBB42_56
; %bb.53:                               ;   in Loop: Header=BB42_43 Depth=1
	ds_load_b32 v26, v8
	s_mov_b32 s22, exec_lo
	s_wait_dscnt 0x0
	v_cmpx_eq_u32_e64 v6, v26
	s_cbranch_execz .LBB42_55
; %bb.54:                               ;   in Loop: Header=BB42_43 Depth=1
	ds_load_b32 v26, v17
	s_wait_dscnt 0x0
	v_add_f32_e32 v9, v9, v26
.LBB42_55:                              ;   in Loop: Header=BB42_43 Depth=1
	s_or_b32 exec_lo, exec_lo, s22
.LBB42_56:                              ;   in Loop: Header=BB42_43 Depth=1
	s_delay_alu instid0(SALU_CYCLE_1)
	s_or_b32 exec_lo, exec_lo, s0
	s_barrier_signal -1
	s_barrier_wait -1
	ds_store_b32 v7, v9
	s_wait_dscnt 0x0
	s_barrier_signal -1
	s_barrier_wait -1
	s_and_saveexec_b32 s0, s4
	s_cbranch_execz .LBB42_60
; %bb.57:                               ;   in Loop: Header=BB42_43 Depth=1
	ds_load_b32 v26, v10
	s_mov_b32 s22, exec_lo
	s_wait_dscnt 0x0
	v_cmpx_eq_u32_e64 v6, v26
	s_cbranch_execz .LBB42_59
; %bb.58:                               ;   in Loop: Header=BB42_43 Depth=1
	ds_load_b32 v26, v18
	s_wait_dscnt 0x0
	v_add_f32_e32 v9, v9, v26
.LBB42_59:                              ;   in Loop: Header=BB42_43 Depth=1
	s_or_b32 exec_lo, exec_lo, s22
.LBB42_60:                              ;   in Loop: Header=BB42_43 Depth=1
	s_delay_alu instid0(SALU_CYCLE_1)
	s_or_b32 exec_lo, exec_lo, s0
	s_barrier_signal -1
	s_barrier_wait -1
	;; [unrolled: 23-line block ×8, first 2 shown]
	ds_store_b32 v7, v9
	s_wait_dscnt 0x0
	s_barrier_signal -1
	s_barrier_wait -1
	s_and_saveexec_b32 s22, s11
	s_cbranch_execz .LBB42_42
; %bb.85:                               ;   in Loop: Header=BB42_43 Depth=1
	ds_load_b32 v26, v1 offset:4
	v_cmp_lt_i32_e64 s0, -1, v6
	s_wait_dscnt 0x0
	v_cmp_ne_u32_e32 vcc_lo, v6, v26
	s_and_b32 s0, s0, vcc_lo
	s_delay_alu instid0(SALU_CYCLE_1)
	s_and_b32 exec_lo, exec_lo, s0
	s_cbranch_execz .LBB42_42
; %bb.86:                               ;   in Loop: Header=BB42_43 Depth=1
	s_wait_kmcnt 0x0
	global_load_b32 v26, v6, s[28:29] scale_offset
	s_wait_loadcnt 0x0
	v_fmac_f32_e32 v26, s24, v9
	global_store_b32 v6, v26, s[28:29] scale_offset
	s_branch .LBB42_42
.LBB42_87:
	s_wait_xcnt 0x0
	s_mov_b32 s0, exec_lo
	v_cmpx_eq_u32_e32 0xff, v0
	s_cbranch_execz .LBB42_89
; %bb.88:
	v_dual_mov_b32 v0, s23 :: v_dual_mul_f32 v1, s24, v9
	s_wait_kmcnt 0x0
	s_clause 0x1
	global_store_b32 v0, v6, s[16:17] scale_offset th:TH_STORE_NT
	global_store_b32 v0, v1, s[18:19] scale_offset th:TH_STORE_NT
.LBB42_89:
	s_endpgm
	.section	.rodata,"a",@progbits
	.p2align	6, 0x0
	.amdhsa_kernel _ZN9rocsparseL26coomvn_aos_segmented_loopsILj256EiaaffEEvlT0_NS_24const_host_device_scalarIT4_EEPKS1_PKT1_PKT2_PT3_PS1_PS3_21rocsparse_index_base_b
		.amdhsa_group_segment_fixed_size 2048
		.amdhsa_private_segment_fixed_size 0
		.amdhsa_kernarg_size 80
		.amdhsa_user_sgpr_count 2
		.amdhsa_user_sgpr_dispatch_ptr 0
		.amdhsa_user_sgpr_queue_ptr 0
		.amdhsa_user_sgpr_kernarg_segment_ptr 1
		.amdhsa_user_sgpr_dispatch_id 0
		.amdhsa_user_sgpr_kernarg_preload_length 0
		.amdhsa_user_sgpr_kernarg_preload_offset 0
		.amdhsa_user_sgpr_private_segment_size 0
		.amdhsa_wavefront_size32 1
		.amdhsa_uses_dynamic_stack 0
		.amdhsa_enable_private_segment 0
		.amdhsa_system_sgpr_workgroup_id_x 1
		.amdhsa_system_sgpr_workgroup_id_y 0
		.amdhsa_system_sgpr_workgroup_id_z 0
		.amdhsa_system_sgpr_workgroup_info 0
		.amdhsa_system_vgpr_workitem_id 0
		.amdhsa_next_free_vgpr 30
		.amdhsa_next_free_sgpr 32
		.amdhsa_named_barrier_count 0
		.amdhsa_reserve_vcc 1
		.amdhsa_float_round_mode_32 0
		.amdhsa_float_round_mode_16_64 0
		.amdhsa_float_denorm_mode_32 3
		.amdhsa_float_denorm_mode_16_64 3
		.amdhsa_fp16_overflow 0
		.amdhsa_memory_ordered 1
		.amdhsa_forward_progress 1
		.amdhsa_inst_pref_size 21
		.amdhsa_round_robin_scheduling 0
		.amdhsa_exception_fp_ieee_invalid_op 0
		.amdhsa_exception_fp_denorm_src 0
		.amdhsa_exception_fp_ieee_div_zero 0
		.amdhsa_exception_fp_ieee_overflow 0
		.amdhsa_exception_fp_ieee_underflow 0
		.amdhsa_exception_fp_ieee_inexact 0
		.amdhsa_exception_int_div_zero 0
	.end_amdhsa_kernel
	.section	.text._ZN9rocsparseL26coomvn_aos_segmented_loopsILj256EiaaffEEvlT0_NS_24const_host_device_scalarIT4_EEPKS1_PKT1_PKT2_PT3_PS1_PS3_21rocsparse_index_base_b,"axG",@progbits,_ZN9rocsparseL26coomvn_aos_segmented_loopsILj256EiaaffEEvlT0_NS_24const_host_device_scalarIT4_EEPKS1_PKT1_PKT2_PT3_PS1_PS3_21rocsparse_index_base_b,comdat
.Lfunc_end42:
	.size	_ZN9rocsparseL26coomvn_aos_segmented_loopsILj256EiaaffEEvlT0_NS_24const_host_device_scalarIT4_EEPKS1_PKT1_PKT2_PT3_PS1_PS3_21rocsparse_index_base_b, .Lfunc_end42-_ZN9rocsparseL26coomvn_aos_segmented_loopsILj256EiaaffEEvlT0_NS_24const_host_device_scalarIT4_EEPKS1_PKT1_PKT2_PT3_PS1_PS3_21rocsparse_index_base_b
                                        ; -- End function
	.set _ZN9rocsparseL26coomvn_aos_segmented_loopsILj256EiaaffEEvlT0_NS_24const_host_device_scalarIT4_EEPKS1_PKT1_PKT2_PT3_PS1_PS3_21rocsparse_index_base_b.num_vgpr, 30
	.set _ZN9rocsparseL26coomvn_aos_segmented_loopsILj256EiaaffEEvlT0_NS_24const_host_device_scalarIT4_EEPKS1_PKT1_PKT2_PT3_PS1_PS3_21rocsparse_index_base_b.num_agpr, 0
	.set _ZN9rocsparseL26coomvn_aos_segmented_loopsILj256EiaaffEEvlT0_NS_24const_host_device_scalarIT4_EEPKS1_PKT1_PKT2_PT3_PS1_PS3_21rocsparse_index_base_b.numbered_sgpr, 32
	.set _ZN9rocsparseL26coomvn_aos_segmented_loopsILj256EiaaffEEvlT0_NS_24const_host_device_scalarIT4_EEPKS1_PKT1_PKT2_PT3_PS1_PS3_21rocsparse_index_base_b.num_named_barrier, 0
	.set _ZN9rocsparseL26coomvn_aos_segmented_loopsILj256EiaaffEEvlT0_NS_24const_host_device_scalarIT4_EEPKS1_PKT1_PKT2_PT3_PS1_PS3_21rocsparse_index_base_b.private_seg_size, 0
	.set _ZN9rocsparseL26coomvn_aos_segmented_loopsILj256EiaaffEEvlT0_NS_24const_host_device_scalarIT4_EEPKS1_PKT1_PKT2_PT3_PS1_PS3_21rocsparse_index_base_b.uses_vcc, 1
	.set _ZN9rocsparseL26coomvn_aos_segmented_loopsILj256EiaaffEEvlT0_NS_24const_host_device_scalarIT4_EEPKS1_PKT1_PKT2_PT3_PS1_PS3_21rocsparse_index_base_b.uses_flat_scratch, 0
	.set _ZN9rocsparseL26coomvn_aos_segmented_loopsILj256EiaaffEEvlT0_NS_24const_host_device_scalarIT4_EEPKS1_PKT1_PKT2_PT3_PS1_PS3_21rocsparse_index_base_b.has_dyn_sized_stack, 0
	.set _ZN9rocsparseL26coomvn_aos_segmented_loopsILj256EiaaffEEvlT0_NS_24const_host_device_scalarIT4_EEPKS1_PKT1_PKT2_PT3_PS1_PS3_21rocsparse_index_base_b.has_recursion, 0
	.set _ZN9rocsparseL26coomvn_aos_segmented_loopsILj256EiaaffEEvlT0_NS_24const_host_device_scalarIT4_EEPKS1_PKT1_PKT2_PT3_PS1_PS3_21rocsparse_index_base_b.has_indirect_call, 0
	.section	.AMDGPU.csdata,"",@progbits
; Kernel info:
; codeLenInByte = 2660
; TotalNumSgprs: 34
; NumVgprs: 30
; ScratchSize: 0
; MemoryBound: 0
; FloatMode: 240
; IeeeMode: 1
; LDSByteSize: 2048 bytes/workgroup (compile time only)
; SGPRBlocks: 0
; VGPRBlocks: 1
; NumSGPRsForWavesPerEU: 34
; NumVGPRsForWavesPerEU: 30
; NamedBarCnt: 0
; Occupancy: 16
; WaveLimiterHint : 1
; COMPUTE_PGM_RSRC2:SCRATCH_EN: 0
; COMPUTE_PGM_RSRC2:USER_SGPR: 2
; COMPUTE_PGM_RSRC2:TRAP_HANDLER: 0
; COMPUTE_PGM_RSRC2:TGID_X_EN: 1
; COMPUTE_PGM_RSRC2:TGID_Y_EN: 0
; COMPUTE_PGM_RSRC2:TGID_Z_EN: 0
; COMPUTE_PGM_RSRC2:TIDIG_COMP_CNT: 0
	.section	.text._ZN9rocsparseL23coomvn_aos_atomic_loopsILj256ELj1ElaaffEEvlNS_24const_host_device_scalarIT5_EEPKT1_PKT2_PKT3_PT4_21rocsparse_index_base_b,"axG",@progbits,_ZN9rocsparseL23coomvn_aos_atomic_loopsILj256ELj1ElaaffEEvlNS_24const_host_device_scalarIT5_EEPKT1_PKT2_PKT3_PT4_21rocsparse_index_base_b,comdat
	.globl	_ZN9rocsparseL23coomvn_aos_atomic_loopsILj256ELj1ElaaffEEvlNS_24const_host_device_scalarIT5_EEPKT1_PKT2_PKT3_PT4_21rocsparse_index_base_b ; -- Begin function _ZN9rocsparseL23coomvn_aos_atomic_loopsILj256ELj1ElaaffEEvlNS_24const_host_device_scalarIT5_EEPKT1_PKT2_PKT3_PT4_21rocsparse_index_base_b
	.p2align	8
	.type	_ZN9rocsparseL23coomvn_aos_atomic_loopsILj256ELj1ElaaffEEvlNS_24const_host_device_scalarIT5_EEPKT1_PKT2_PKT3_PT4_21rocsparse_index_base_b,@function
_ZN9rocsparseL23coomvn_aos_atomic_loopsILj256ELj1ElaaffEEvlNS_24const_host_device_scalarIT5_EEPKT1_PKT2_PKT3_PT4_21rocsparse_index_base_b: ; @_ZN9rocsparseL23coomvn_aos_atomic_loopsILj256ELj1ElaaffEEvlNS_24const_host_device_scalarIT5_EEPKT1_PKT2_PKT3_PT4_21rocsparse_index_base_b
; %bb.0:
	s_clause 0x1
	s_load_b64 s[2:3], s[0:1], 0x30
	s_load_b128 s[4:7], s[0:1], 0x0
	s_wait_kmcnt 0x0
	s_bitcmp1_b32 s3, 0
	s_cselect_b32 s3, -1, 0
	s_delay_alu instid0(SALU_CYCLE_1)
	s_and_b32 vcc_lo, exec_lo, s3
	s_cbranch_vccnz .LBB43_2
; %bb.1:
	s_load_b32 s6, s[6:7], 0x0
.LBB43_2:
	s_wait_kmcnt 0x0
	s_cmp_eq_f32 s6, 0
	s_cbranch_scc1 .LBB43_42
; %bb.3:
	s_bfe_u32 s3, ttmp6, 0x4000c
	s_and_b32 s7, ttmp6, 15
	s_add_co_i32 s3, s3, 1
	s_getreg_b32 s8, hwreg(HW_REG_IB_STS2, 6, 4)
	s_mul_i32 s3, ttmp9, s3
	v_mov_b32_e32 v3, 0
	s_add_co_i32 s7, s7, s3
	s_cmp_eq_u32 s8, 0
	v_mov_b64_e32 v[4:5], -1
	s_cselect_b32 s3, ttmp9, s7
	s_delay_alu instid0(SALU_CYCLE_1) | instskip(NEXT) | instid1(VALU_DEP_1)
	v_lshl_or_b32 v2, s3, 8, v0
	v_cmp_gt_i64_e32 vcc_lo, s[4:5], v[2:3]
	s_and_saveexec_b32 s4, vcc_lo
	s_cbranch_execz .LBB43_5
; %bb.4:
	s_clause 0x1
	s_load_b128 s[8:11], s[0:1], 0x10
	s_load_b64 s[12:13], s[0:1], 0x20
	s_mov_b32 s3, 0
	s_wait_kmcnt 0x0
	v_lshl_add_u64 v[4:5], v[2:3], 4, s[8:9]
	v_add_nc_u64_e32 v[2:3], s[10:11], v[2:3]
	global_load_b128 v[4:7], v[4:5], off th:TH_LOAD_NT
	s_wait_loadcnt 0x0
	v_sub_nc_u64_e64 v[6:7], v[6:7], s[2:3]
	v_sub_nc_u64_e64 v[4:5], v[4:5], s[2:3]
	s_delay_alu instid0(VALU_DEP_2)
	v_add_nc_u64_e32 v[6:7], s[12:13], v[6:7]
	global_load_i8 v1, v[2:3], off th:TH_LOAD_NT
	global_load_i8 v8, v[6:7], off
	s_wait_loadcnt 0x1
	v_cvt_f32_i32_e32 v1, v1
	s_wait_loadcnt 0x0
	v_cvt_f32_i32_e32 v2, v8
	s_delay_alu instid0(VALU_DEP_1)
	v_mul_f32_e32 v3, v1, v2
.LBB43_5:
	s_or_b32 exec_lo, exec_lo, s4
	v_dual_lshlrev_b32 v6, 2, v0 :: v_dual_lshlrev_b32 v1, 3, v0
	s_mov_b32 s2, exec_lo
	ds_store_b64 v1, v[4:5]
	ds_store_b32 v6, v3 offset:2048
	v_or_b32_e32 v2, 0x800, v6
	s_wait_dscnt 0x0
	s_barrier_signal -1
	s_barrier_wait -1
	v_cmpx_ne_u32_e32 0, v0
	s_cbranch_execz .LBB43_9
; %bb.6:
	v_add_nc_u32_e32 v6, -8, v1
	s_mov_b32 s3, exec_lo
	ds_load_b64 v[6:7], v6
	s_wait_dscnt 0x0
	v_cmpx_eq_u64_e64 v[4:5], v[6:7]
	s_cbranch_execz .LBB43_8
; %bb.7:
	v_add_nc_u32_e32 v6, -4, v2
	ds_load_b32 v6, v6
	s_wait_dscnt 0x0
	v_add_f32_e32 v3, v3, v6
.LBB43_8:
	s_or_b32 exec_lo, exec_lo, s3
.LBB43_9:
	s_delay_alu instid0(SALU_CYCLE_1) | instskip(NEXT) | instid1(SALU_CYCLE_1)
	s_or_b32 exec_lo, exec_lo, s2
	s_mov_b32 s2, exec_lo
	s_barrier_signal -1
	s_barrier_wait -1
	ds_store_b32 v2, v3
	s_wait_dscnt 0x0
	s_barrier_signal -1
	s_barrier_wait -1
	v_cmpx_lt_u32_e32 1, v0
	s_cbranch_execz .LBB43_13
; %bb.10:
	v_add_nc_u32_e32 v6, -16, v1
	s_mov_b32 s3, exec_lo
	ds_load_b64 v[6:7], v6
	s_wait_dscnt 0x0
	v_cmpx_eq_u64_e64 v[4:5], v[6:7]
	s_cbranch_execz .LBB43_12
; %bb.11:
	v_add_nc_u32_e32 v6, -8, v2
	ds_load_b32 v6, v6
	s_wait_dscnt 0x0
	v_add_f32_e32 v3, v3, v6
.LBB43_12:
	s_or_b32 exec_lo, exec_lo, s3
.LBB43_13:
	s_delay_alu instid0(SALU_CYCLE_1) | instskip(NEXT) | instid1(SALU_CYCLE_1)
	s_or_b32 exec_lo, exec_lo, s2
	s_mov_b32 s2, exec_lo
	s_barrier_signal -1
	s_barrier_wait -1
	ds_store_b32 v2, v3
	s_wait_dscnt 0x0
	s_barrier_signal -1
	s_barrier_wait -1
	v_cmpx_lt_u32_e32 3, v0
	s_cbranch_execz .LBB43_17
; %bb.14:
	v_subrev_nc_u32_e32 v6, 32, v1
	s_mov_b32 s3, exec_lo
	ds_load_b64 v[6:7], v6
	s_wait_dscnt 0x0
	v_cmpx_eq_u64_e64 v[4:5], v[6:7]
	s_cbranch_execz .LBB43_16
; %bb.15:
	v_add_nc_u32_e32 v6, -16, v2
	ds_load_b32 v6, v6
	s_wait_dscnt 0x0
	v_add_f32_e32 v3, v3, v6
.LBB43_16:
	s_or_b32 exec_lo, exec_lo, s3
.LBB43_17:
	s_delay_alu instid0(SALU_CYCLE_1) | instskip(NEXT) | instid1(SALU_CYCLE_1)
	s_or_b32 exec_lo, exec_lo, s2
	s_mov_b32 s2, exec_lo
	s_barrier_signal -1
	s_barrier_wait -1
	ds_store_b32 v2, v3
	s_wait_dscnt 0x0
	s_barrier_signal -1
	s_barrier_wait -1
	v_cmpx_lt_u32_e32 7, v0
	s_cbranch_execz .LBB43_21
; %bb.18:
	v_subrev_nc_u32_e32 v6, 64, v1
	s_mov_b32 s3, exec_lo
	ds_load_b64 v[6:7], v6
	s_wait_dscnt 0x0
	v_cmpx_eq_u64_e64 v[4:5], v[6:7]
	s_cbranch_execz .LBB43_20
; %bb.19:
	v_subrev_nc_u32_e32 v6, 32, v2
	ds_load_b32 v6, v6
	s_wait_dscnt 0x0
	v_add_f32_e32 v3, v3, v6
.LBB43_20:
	s_or_b32 exec_lo, exec_lo, s3
.LBB43_21:
	s_delay_alu instid0(SALU_CYCLE_1) | instskip(NEXT) | instid1(SALU_CYCLE_1)
	s_or_b32 exec_lo, exec_lo, s2
	s_mov_b32 s2, exec_lo
	s_barrier_signal -1
	s_barrier_wait -1
	ds_store_b32 v2, v3
	s_wait_dscnt 0x0
	s_barrier_signal -1
	s_barrier_wait -1
	v_cmpx_lt_u32_e32 15, v0
	s_cbranch_execz .LBB43_25
; %bb.22:
	v_add_nc_u32_e32 v6, 0xffffff80, v1
	s_mov_b32 s3, exec_lo
	ds_load_b64 v[6:7], v6
	s_wait_dscnt 0x0
	v_cmpx_eq_u64_e64 v[4:5], v[6:7]
	s_cbranch_execz .LBB43_24
; %bb.23:
	v_subrev_nc_u32_e32 v6, 64, v2
	ds_load_b32 v6, v6
	s_wait_dscnt 0x0
	v_add_f32_e32 v3, v3, v6
.LBB43_24:
	s_or_b32 exec_lo, exec_lo, s3
.LBB43_25:
	s_delay_alu instid0(SALU_CYCLE_1) | instskip(NEXT) | instid1(SALU_CYCLE_1)
	s_or_b32 exec_lo, exec_lo, s2
	s_mov_b32 s2, exec_lo
	s_barrier_signal -1
	s_barrier_wait -1
	ds_store_b32 v2, v3
	s_wait_dscnt 0x0
	s_barrier_signal -1
	s_barrier_wait -1
	v_cmpx_lt_u32_e32 31, v0
	s_cbranch_execz .LBB43_29
; %bb.26:
	v_add_nc_u32_e32 v6, 0xffffff00, v1
	s_mov_b32 s3, exec_lo
	ds_load_b64 v[6:7], v6
	s_wait_dscnt 0x0
	v_cmpx_eq_u64_e64 v[4:5], v[6:7]
	s_cbranch_execz .LBB43_28
; %bb.27:
	v_add_nc_u32_e32 v6, 0xffffff80, v2
	ds_load_b32 v6, v6
	s_wait_dscnt 0x0
	v_add_f32_e32 v3, v3, v6
.LBB43_28:
	s_or_b32 exec_lo, exec_lo, s3
.LBB43_29:
	s_delay_alu instid0(SALU_CYCLE_1) | instskip(NEXT) | instid1(SALU_CYCLE_1)
	s_or_b32 exec_lo, exec_lo, s2
	s_mov_b32 s2, exec_lo
	s_barrier_signal -1
	s_barrier_wait -1
	ds_store_b32 v2, v3
	s_wait_dscnt 0x0
	s_barrier_signal -1
	s_barrier_wait -1
	v_cmpx_lt_u32_e32 63, v0
	s_cbranch_execz .LBB43_33
; %bb.30:
	v_add_nc_u32_e32 v6, 0xfffffe00, v1
	s_mov_b32 s3, exec_lo
	ds_load_b64 v[6:7], v6
	s_wait_dscnt 0x0
	v_cmpx_eq_u64_e64 v[4:5], v[6:7]
	s_cbranch_execz .LBB43_32
; %bb.31:
	v_add_nc_u32_e32 v6, 0xffffff00, v2
	ds_load_b32 v6, v6
	s_wait_dscnt 0x0
	v_add_f32_e32 v3, v3, v6
.LBB43_32:
	s_or_b32 exec_lo, exec_lo, s3
.LBB43_33:
	;; [unrolled: 26-line block ×3, first 2 shown]
	s_delay_alu instid0(SALU_CYCLE_1)
	s_or_b32 exec_lo, exec_lo, s2
	s_load_b64 s[2:3], s[0:1], 0x28
	s_wait_xcnt 0x0
	s_mov_b32 s1, exec_lo
	s_barrier_signal -1
	s_barrier_wait -1
	ds_store_b32 v2, v3
	s_wait_dscnt 0x0
	s_barrier_signal -1
	s_barrier_wait -1
	v_cmpx_gt_u32_e32 0xff, v0
	s_cbranch_execz .LBB43_40
; %bb.38:
	ds_load_b64 v[6:7], v1 offset:8
	v_cmp_lt_i64_e64 s0, -1, v[4:5]
	s_wait_dscnt 0x0
	v_cmp_ne_u64_e32 vcc_lo, v[4:5], v[6:7]
	s_and_b32 s0, s0, vcc_lo
	s_delay_alu instid0(SALU_CYCLE_1)
	s_and_b32 exec_lo, exec_lo, s0
	s_cbranch_execz .LBB43_40
; %bb.39:
	s_wait_kmcnt 0x0
	v_lshl_add_u64 v[6:7], v[4:5], 2, s[2:3]
	v_mul_f32_e32 v1, s6, v3
	global_atomic_add_f32 v[6:7], v1, off scope:SCOPE_DEV
.LBB43_40:
	s_wait_xcnt 0x0
	s_or_b32 exec_lo, exec_lo, s1
	v_cmp_lt_i64_e32 vcc_lo, -1, v[4:5]
	v_cmp_eq_u32_e64 s0, 0xff, v0
	s_and_b32 s0, s0, vcc_lo
	s_delay_alu instid0(SALU_CYCLE_1)
	s_and_saveexec_b32 s1, s0
	s_cbranch_execz .LBB43_42
; %bb.41:
	s_wait_kmcnt 0x0
	v_lshl_add_u64 v[0:1], v[4:5], 2, s[2:3]
	v_mul_f32_e32 v2, s6, v3
	global_atomic_add_f32 v[0:1], v2, off scope:SCOPE_DEV
.LBB43_42:
	s_endpgm
	.section	.rodata,"a",@progbits
	.p2align	6, 0x0
	.amdhsa_kernel _ZN9rocsparseL23coomvn_aos_atomic_loopsILj256ELj1ElaaffEEvlNS_24const_host_device_scalarIT5_EEPKT1_PKT2_PKT3_PT4_21rocsparse_index_base_b
		.amdhsa_group_segment_fixed_size 3072
		.amdhsa_private_segment_fixed_size 0
		.amdhsa_kernarg_size 56
		.amdhsa_user_sgpr_count 2
		.amdhsa_user_sgpr_dispatch_ptr 0
		.amdhsa_user_sgpr_queue_ptr 0
		.amdhsa_user_sgpr_kernarg_segment_ptr 1
		.amdhsa_user_sgpr_dispatch_id 0
		.amdhsa_user_sgpr_kernarg_preload_length 0
		.amdhsa_user_sgpr_kernarg_preload_offset 0
		.amdhsa_user_sgpr_private_segment_size 0
		.amdhsa_wavefront_size32 1
		.amdhsa_uses_dynamic_stack 0
		.amdhsa_enable_private_segment 0
		.amdhsa_system_sgpr_workgroup_id_x 1
		.amdhsa_system_sgpr_workgroup_id_y 0
		.amdhsa_system_sgpr_workgroup_id_z 0
		.amdhsa_system_sgpr_workgroup_info 0
		.amdhsa_system_vgpr_workitem_id 0
		.amdhsa_next_free_vgpr 9
		.amdhsa_next_free_sgpr 14
		.amdhsa_named_barrier_count 0
		.amdhsa_reserve_vcc 1
		.amdhsa_float_round_mode_32 0
		.amdhsa_float_round_mode_16_64 0
		.amdhsa_float_denorm_mode_32 3
		.amdhsa_float_denorm_mode_16_64 3
		.amdhsa_fp16_overflow 0
		.amdhsa_memory_ordered 1
		.amdhsa_forward_progress 1
		.amdhsa_inst_pref_size 11
		.amdhsa_round_robin_scheduling 0
		.amdhsa_exception_fp_ieee_invalid_op 0
		.amdhsa_exception_fp_denorm_src 0
		.amdhsa_exception_fp_ieee_div_zero 0
		.amdhsa_exception_fp_ieee_overflow 0
		.amdhsa_exception_fp_ieee_underflow 0
		.amdhsa_exception_fp_ieee_inexact 0
		.amdhsa_exception_int_div_zero 0
	.end_amdhsa_kernel
	.section	.text._ZN9rocsparseL23coomvn_aos_atomic_loopsILj256ELj1ElaaffEEvlNS_24const_host_device_scalarIT5_EEPKT1_PKT2_PKT3_PT4_21rocsparse_index_base_b,"axG",@progbits,_ZN9rocsparseL23coomvn_aos_atomic_loopsILj256ELj1ElaaffEEvlNS_24const_host_device_scalarIT5_EEPKT1_PKT2_PKT3_PT4_21rocsparse_index_base_b,comdat
.Lfunc_end43:
	.size	_ZN9rocsparseL23coomvn_aos_atomic_loopsILj256ELj1ElaaffEEvlNS_24const_host_device_scalarIT5_EEPKT1_PKT2_PKT3_PT4_21rocsparse_index_base_b, .Lfunc_end43-_ZN9rocsparseL23coomvn_aos_atomic_loopsILj256ELj1ElaaffEEvlNS_24const_host_device_scalarIT5_EEPKT1_PKT2_PKT3_PT4_21rocsparse_index_base_b
                                        ; -- End function
	.set _ZN9rocsparseL23coomvn_aos_atomic_loopsILj256ELj1ElaaffEEvlNS_24const_host_device_scalarIT5_EEPKT1_PKT2_PKT3_PT4_21rocsparse_index_base_b.num_vgpr, 9
	.set _ZN9rocsparseL23coomvn_aos_atomic_loopsILj256ELj1ElaaffEEvlNS_24const_host_device_scalarIT5_EEPKT1_PKT2_PKT3_PT4_21rocsparse_index_base_b.num_agpr, 0
	.set _ZN9rocsparseL23coomvn_aos_atomic_loopsILj256ELj1ElaaffEEvlNS_24const_host_device_scalarIT5_EEPKT1_PKT2_PKT3_PT4_21rocsparse_index_base_b.numbered_sgpr, 14
	.set _ZN9rocsparseL23coomvn_aos_atomic_loopsILj256ELj1ElaaffEEvlNS_24const_host_device_scalarIT5_EEPKT1_PKT2_PKT3_PT4_21rocsparse_index_base_b.num_named_barrier, 0
	.set _ZN9rocsparseL23coomvn_aos_atomic_loopsILj256ELj1ElaaffEEvlNS_24const_host_device_scalarIT5_EEPKT1_PKT2_PKT3_PT4_21rocsparse_index_base_b.private_seg_size, 0
	.set _ZN9rocsparseL23coomvn_aos_atomic_loopsILj256ELj1ElaaffEEvlNS_24const_host_device_scalarIT5_EEPKT1_PKT2_PKT3_PT4_21rocsparse_index_base_b.uses_vcc, 1
	.set _ZN9rocsparseL23coomvn_aos_atomic_loopsILj256ELj1ElaaffEEvlNS_24const_host_device_scalarIT5_EEPKT1_PKT2_PKT3_PT4_21rocsparse_index_base_b.uses_flat_scratch, 0
	.set _ZN9rocsparseL23coomvn_aos_atomic_loopsILj256ELj1ElaaffEEvlNS_24const_host_device_scalarIT5_EEPKT1_PKT2_PKT3_PT4_21rocsparse_index_base_b.has_dyn_sized_stack, 0
	.set _ZN9rocsparseL23coomvn_aos_atomic_loopsILj256ELj1ElaaffEEvlNS_24const_host_device_scalarIT5_EEPKT1_PKT2_PKT3_PT4_21rocsparse_index_base_b.has_recursion, 0
	.set _ZN9rocsparseL23coomvn_aos_atomic_loopsILj256ELj1ElaaffEEvlNS_24const_host_device_scalarIT5_EEPKT1_PKT2_PKT3_PT4_21rocsparse_index_base_b.has_indirect_call, 0
	.section	.AMDGPU.csdata,"",@progbits
; Kernel info:
; codeLenInByte = 1344
; TotalNumSgprs: 16
; NumVgprs: 9
; ScratchSize: 0
; MemoryBound: 0
; FloatMode: 240
; IeeeMode: 1
; LDSByteSize: 3072 bytes/workgroup (compile time only)
; SGPRBlocks: 0
; VGPRBlocks: 0
; NumSGPRsForWavesPerEU: 16
; NumVGPRsForWavesPerEU: 9
; NamedBarCnt: 0
; Occupancy: 16
; WaveLimiterHint : 1
; COMPUTE_PGM_RSRC2:SCRATCH_EN: 0
; COMPUTE_PGM_RSRC2:USER_SGPR: 2
; COMPUTE_PGM_RSRC2:TRAP_HANDLER: 0
; COMPUTE_PGM_RSRC2:TGID_X_EN: 1
; COMPUTE_PGM_RSRC2:TGID_Y_EN: 0
; COMPUTE_PGM_RSRC2:TGID_Z_EN: 0
; COMPUTE_PGM_RSRC2:TIDIG_COMP_CNT: 0
	.section	.text._ZN9rocsparseL17coomvt_aos_kernelILj1024ElaaffEEv20rocsparse_operation_lNS_24const_host_device_scalarIT4_EEPKT0_PKT1_PKT2_PT3_21rocsparse_index_base_b,"axG",@progbits,_ZN9rocsparseL17coomvt_aos_kernelILj1024ElaaffEEv20rocsparse_operation_lNS_24const_host_device_scalarIT4_EEPKT0_PKT1_PKT2_PT3_21rocsparse_index_base_b,comdat
	.globl	_ZN9rocsparseL17coomvt_aos_kernelILj1024ElaaffEEv20rocsparse_operation_lNS_24const_host_device_scalarIT4_EEPKT0_PKT1_PKT2_PT3_21rocsparse_index_base_b ; -- Begin function _ZN9rocsparseL17coomvt_aos_kernelILj1024ElaaffEEv20rocsparse_operation_lNS_24const_host_device_scalarIT4_EEPKT0_PKT1_PKT2_PT3_21rocsparse_index_base_b
	.p2align	8
	.type	_ZN9rocsparseL17coomvt_aos_kernelILj1024ElaaffEEv20rocsparse_operation_lNS_24const_host_device_scalarIT4_EEPKT0_PKT1_PKT2_PT3_21rocsparse_index_base_b,@function
_ZN9rocsparseL17coomvt_aos_kernelILj1024ElaaffEEv20rocsparse_operation_lNS_24const_host_device_scalarIT4_EEPKT0_PKT1_PKT2_PT3_21rocsparse_index_base_b: ; @_ZN9rocsparseL17coomvt_aos_kernelILj1024ElaaffEEv20rocsparse_operation_lNS_24const_host_device_scalarIT4_EEPKT0_PKT1_PKT2_PT3_21rocsparse_index_base_b
; %bb.0:
	s_clause 0x1
	s_load_b64 s[2:3], s[0:1], 0x38
	s_load_b128 s[4:7], s[0:1], 0x8
	s_wait_kmcnt 0x0
	s_bitcmp1_b32 s3, 0
	s_cselect_b32 s3, -1, 0
	s_delay_alu instid0(SALU_CYCLE_1)
	s_and_b32 vcc_lo, exec_lo, s3
	s_cbranch_vccnz .LBB44_2
; %bb.1:
	s_load_b32 s6, s[6:7], 0x0
.LBB44_2:
	s_wait_kmcnt 0x0
	s_cmp_eq_f32 s6, 0
	s_cbranch_scc1 .LBB44_5
; %bb.3:
	s_load_b32 s3, s[0:1], 0x4c
	s_bfe_u32 s7, ttmp6, 0x4000c
	s_and_b32 s8, ttmp6, 15
	s_add_co_i32 s7, s7, 1
	s_getreg_b32 s9, hwreg(HW_REG_IB_STS2, 6, 4)
	s_mul_i32 s7, ttmp9, s7
	v_mov_b32_e32 v1, 0
	s_add_co_i32 s8, s8, s7
	s_wait_kmcnt 0x0
	s_and_b32 s3, s3, 0xffff
	s_cmp_eq_u32 s9, 0
	s_cselect_b32 s7, ttmp9, s8
	s_delay_alu instid0(SALU_CYCLE_1) | instskip(SKIP_1) | instid1(VALU_DEP_1)
	v_mad_u32 v0, s7, s3, v0
	s_mov_b32 s3, exec_lo
	v_cmpx_gt_i64_e64 s[4:5], v[0:1]
	s_cbranch_execz .LBB44_5
; %bb.4:
	s_load_b256 s[8:15], s[0:1], 0x18
	s_mov_b32 s3, 0
	s_wait_kmcnt 0x0
	v_lshl_add_u64 v[2:3], v[0:1], 4, s[8:9]
	v_add_nc_u64_e32 v[0:1], s[10:11], v[0:1]
	global_load_b128 v[2:5], v[2:3], off
	s_wait_loadcnt 0x0
	v_sub_nc_u64_e64 v[2:3], v[2:3], s[2:3]
	s_delay_alu instid0(VALU_DEP_1) | instskip(SKIP_4) | instid1(VALU_DEP_1)
	v_add_nc_u64_e32 v[2:3], s[12:13], v[2:3]
	global_load_i8 v6, v[0:1], off
	global_load_i8 v7, v[2:3], off
	s_wait_xcnt 0x1
	v_sub_nc_u64_e64 v[0:1], v[4:5], s[2:3]
	v_lshl_add_u64 v[0:1], v[0:1], 2, s[14:15]
	s_wait_loadcnt 0x1
	s_wait_xcnt 0x0
	v_cvt_f32_i32_e32 v2, v6
	s_wait_loadcnt 0x0
	v_cvt_f32_i32_e32 v3, v7
	s_delay_alu instid0(VALU_DEP_2) | instskip(NEXT) | instid1(VALU_DEP_1)
	v_mul_f32_e32 v2, s6, v2
	v_mul_f32_e32 v2, v2, v3
	global_atomic_add_f32 v[0:1], v2, off scope:SCOPE_DEV
.LBB44_5:
	s_endpgm
	.section	.rodata,"a",@progbits
	.p2align	6, 0x0
	.amdhsa_kernel _ZN9rocsparseL17coomvt_aos_kernelILj1024ElaaffEEv20rocsparse_operation_lNS_24const_host_device_scalarIT4_EEPKT0_PKT1_PKT2_PT3_21rocsparse_index_base_b
		.amdhsa_group_segment_fixed_size 0
		.amdhsa_private_segment_fixed_size 0
		.amdhsa_kernarg_size 320
		.amdhsa_user_sgpr_count 2
		.amdhsa_user_sgpr_dispatch_ptr 0
		.amdhsa_user_sgpr_queue_ptr 0
		.amdhsa_user_sgpr_kernarg_segment_ptr 1
		.amdhsa_user_sgpr_dispatch_id 0
		.amdhsa_user_sgpr_kernarg_preload_length 0
		.amdhsa_user_sgpr_kernarg_preload_offset 0
		.amdhsa_user_sgpr_private_segment_size 0
		.amdhsa_wavefront_size32 1
		.amdhsa_uses_dynamic_stack 0
		.amdhsa_enable_private_segment 0
		.amdhsa_system_sgpr_workgroup_id_x 1
		.amdhsa_system_sgpr_workgroup_id_y 0
		.amdhsa_system_sgpr_workgroup_id_z 0
		.amdhsa_system_sgpr_workgroup_info 0
		.amdhsa_system_vgpr_workitem_id 0
		.amdhsa_next_free_vgpr 8
		.amdhsa_next_free_sgpr 16
		.amdhsa_named_barrier_count 0
		.amdhsa_reserve_vcc 1
		.amdhsa_float_round_mode_32 0
		.amdhsa_float_round_mode_16_64 0
		.amdhsa_float_denorm_mode_32 3
		.amdhsa_float_denorm_mode_16_64 3
		.amdhsa_fp16_overflow 0
		.amdhsa_memory_ordered 1
		.amdhsa_forward_progress 1
		.amdhsa_inst_pref_size 3
		.amdhsa_round_robin_scheduling 0
		.amdhsa_exception_fp_ieee_invalid_op 0
		.amdhsa_exception_fp_denorm_src 0
		.amdhsa_exception_fp_ieee_div_zero 0
		.amdhsa_exception_fp_ieee_overflow 0
		.amdhsa_exception_fp_ieee_underflow 0
		.amdhsa_exception_fp_ieee_inexact 0
		.amdhsa_exception_int_div_zero 0
	.end_amdhsa_kernel
	.section	.text._ZN9rocsparseL17coomvt_aos_kernelILj1024ElaaffEEv20rocsparse_operation_lNS_24const_host_device_scalarIT4_EEPKT0_PKT1_PKT2_PT3_21rocsparse_index_base_b,"axG",@progbits,_ZN9rocsparseL17coomvt_aos_kernelILj1024ElaaffEEv20rocsparse_operation_lNS_24const_host_device_scalarIT4_EEPKT0_PKT1_PKT2_PT3_21rocsparse_index_base_b,comdat
.Lfunc_end44:
	.size	_ZN9rocsparseL17coomvt_aos_kernelILj1024ElaaffEEv20rocsparse_operation_lNS_24const_host_device_scalarIT4_EEPKT0_PKT1_PKT2_PT3_21rocsparse_index_base_b, .Lfunc_end44-_ZN9rocsparseL17coomvt_aos_kernelILj1024ElaaffEEv20rocsparse_operation_lNS_24const_host_device_scalarIT4_EEPKT0_PKT1_PKT2_PT3_21rocsparse_index_base_b
                                        ; -- End function
	.set _ZN9rocsparseL17coomvt_aos_kernelILj1024ElaaffEEv20rocsparse_operation_lNS_24const_host_device_scalarIT4_EEPKT0_PKT1_PKT2_PT3_21rocsparse_index_base_b.num_vgpr, 8
	.set _ZN9rocsparseL17coomvt_aos_kernelILj1024ElaaffEEv20rocsparse_operation_lNS_24const_host_device_scalarIT4_EEPKT0_PKT1_PKT2_PT3_21rocsparse_index_base_b.num_agpr, 0
	.set _ZN9rocsparseL17coomvt_aos_kernelILj1024ElaaffEEv20rocsparse_operation_lNS_24const_host_device_scalarIT4_EEPKT0_PKT1_PKT2_PT3_21rocsparse_index_base_b.numbered_sgpr, 16
	.set _ZN9rocsparseL17coomvt_aos_kernelILj1024ElaaffEEv20rocsparse_operation_lNS_24const_host_device_scalarIT4_EEPKT0_PKT1_PKT2_PT3_21rocsparse_index_base_b.num_named_barrier, 0
	.set _ZN9rocsparseL17coomvt_aos_kernelILj1024ElaaffEEv20rocsparse_operation_lNS_24const_host_device_scalarIT4_EEPKT0_PKT1_PKT2_PT3_21rocsparse_index_base_b.private_seg_size, 0
	.set _ZN9rocsparseL17coomvt_aos_kernelILj1024ElaaffEEv20rocsparse_operation_lNS_24const_host_device_scalarIT4_EEPKT0_PKT1_PKT2_PT3_21rocsparse_index_base_b.uses_vcc, 1
	.set _ZN9rocsparseL17coomvt_aos_kernelILj1024ElaaffEEv20rocsparse_operation_lNS_24const_host_device_scalarIT4_EEPKT0_PKT1_PKT2_PT3_21rocsparse_index_base_b.uses_flat_scratch, 0
	.set _ZN9rocsparseL17coomvt_aos_kernelILj1024ElaaffEEv20rocsparse_operation_lNS_24const_host_device_scalarIT4_EEPKT0_PKT1_PKT2_PT3_21rocsparse_index_base_b.has_dyn_sized_stack, 0
	.set _ZN9rocsparseL17coomvt_aos_kernelILj1024ElaaffEEv20rocsparse_operation_lNS_24const_host_device_scalarIT4_EEPKT0_PKT1_PKT2_PT3_21rocsparse_index_base_b.has_recursion, 0
	.set _ZN9rocsparseL17coomvt_aos_kernelILj1024ElaaffEEv20rocsparse_operation_lNS_24const_host_device_scalarIT4_EEPKT0_PKT1_PKT2_PT3_21rocsparse_index_base_b.has_indirect_call, 0
	.section	.AMDGPU.csdata,"",@progbits
; Kernel info:
; codeLenInByte = 304
; TotalNumSgprs: 18
; NumVgprs: 8
; ScratchSize: 0
; MemoryBound: 0
; FloatMode: 240
; IeeeMode: 1
; LDSByteSize: 0 bytes/workgroup (compile time only)
; SGPRBlocks: 0
; VGPRBlocks: 0
; NumSGPRsForWavesPerEU: 18
; NumVGPRsForWavesPerEU: 8
; NamedBarCnt: 0
; Occupancy: 16
; WaveLimiterHint : 1
; COMPUTE_PGM_RSRC2:SCRATCH_EN: 0
; COMPUTE_PGM_RSRC2:USER_SGPR: 2
; COMPUTE_PGM_RSRC2:TRAP_HANDLER: 0
; COMPUTE_PGM_RSRC2:TGID_X_EN: 1
; COMPUTE_PGM_RSRC2:TGID_Y_EN: 0
; COMPUTE_PGM_RSRC2:TGID_Z_EN: 0
; COMPUTE_PGM_RSRC2:TIDIG_COMP_CNT: 0
	.section	.text._ZN9rocsparseL26coomvn_aos_segmented_loopsILj256ElaaffEEvlT0_NS_24const_host_device_scalarIT4_EEPKS1_PKT1_PKT2_PT3_PS1_PS3_21rocsparse_index_base_b,"axG",@progbits,_ZN9rocsparseL26coomvn_aos_segmented_loopsILj256ElaaffEEvlT0_NS_24const_host_device_scalarIT4_EEPKS1_PKT1_PKT2_PT3_PS1_PS3_21rocsparse_index_base_b,comdat
	.globl	_ZN9rocsparseL26coomvn_aos_segmented_loopsILj256ElaaffEEvlT0_NS_24const_host_device_scalarIT4_EEPKS1_PKT1_PKT2_PT3_PS1_PS3_21rocsparse_index_base_b ; -- Begin function _ZN9rocsparseL26coomvn_aos_segmented_loopsILj256ElaaffEEvlT0_NS_24const_host_device_scalarIT4_EEPKS1_PKT1_PKT2_PT3_PS1_PS3_21rocsparse_index_base_b
	.p2align	8
	.type	_ZN9rocsparseL26coomvn_aos_segmented_loopsILj256ElaaffEEvlT0_NS_24const_host_device_scalarIT4_EEPKS1_PKT1_PKT2_PT3_PS1_PS3_21rocsparse_index_base_b,@function
_ZN9rocsparseL26coomvn_aos_segmented_loopsILj256ElaaffEEvlT0_NS_24const_host_device_scalarIT4_EEPKS1_PKT1_PKT2_PT3_PS1_PS3_21rocsparse_index_base_b: ; @_ZN9rocsparseL26coomvn_aos_segmented_loopsILj256ElaaffEEvlT0_NS_24const_host_device_scalarIT4_EEPKS1_PKT1_PKT2_PT3_PS1_PS3_21rocsparse_index_base_b
; %bb.0:
	s_clause 0x1
	s_load_b64 s[26:27], s[0:1], 0x48
	s_load_b64 s[14:15], s[0:1], 0x10
	s_wait_kmcnt 0x0
	s_bitcmp1_b32 s27, 0
	s_cselect_b32 s2, -1, 0
	s_delay_alu instid0(SALU_CYCLE_1)
	s_and_b32 vcc_lo, exec_lo, s2
	s_cbranch_vccnz .LBB45_2
; %bb.1:
	s_load_b32 s14, s[14:15], 0x0
.LBB45_2:
	s_wait_kmcnt 0x0
	s_cmp_eq_f32 s14, 0
	s_mov_b32 s25, 0
	s_cbranch_scc1 .LBB45_89
; %bb.3:
	s_clause 0x1
	s_load_b128 s[16:19], s[0:1], 0x0
	s_load_b128 s[20:23], s[0:1], 0x18
	s_bfe_u32 s2, ttmp6, 0x4000c
	s_load_b64 s[30:31], s[0:1], 0x28
	s_add_co_i32 s2, s2, 1
	s_and_b32 s3, ttmp6, 15
	s_mul_i32 s2, ttmp9, s2
	s_getreg_b32 s4, hwreg(HW_REG_IB_STS2, 6, 4)
	s_add_co_i32 s3, s3, s2
	s_cmp_eq_u32 s4, 0
	v_mov_b64_e32 v[2:3], -1
	s_cselect_b32 s24, ttmp9, s3
	v_mov_b32_e32 v6, 0
	s_wait_kmcnt 0x0
	s_mul_u64 s[34:35], s[24:25], s[18:19]
	s_delay_alu instid0(SALU_CYCLE_1) | instskip(NEXT) | instid1(SALU_CYCLE_1)
	s_lshl_b64 s[2:3], s[34:35], 8
	v_dual_mov_b32 v5, s3 :: v_dual_bitop2_b32 v4, s2, v0 bitop3:0x54
	s_mov_b32 s2, exec_lo
	s_delay_alu instid0(VALU_DEP_1)
	v_cmpx_gt_i64_e64 s[16:17], v[4:5]
	s_cbranch_execz .LBB45_5
; %bb.4:
	v_lshl_add_u64 v[2:3], v[4:5], 4, s[20:21]
	s_mov_b32 s27, 0
	global_load_b128 v[6:9], v[2:3], off th:TH_LOAD_NT
	s_wait_loadcnt 0x0
	v_add_nc_u64_e32 v[8:9], s[30:31], v[8:9]
	v_sub_nc_u64_e64 v[2:3], v[6:7], s[26:27]
	s_ashr_i32 s27, s26, 31
	v_add_nc_u64_e32 v[6:7], s[22:23], v[4:5]
	s_sub_nc_u64 s[4:5], 0, s[26:27]
	s_delay_alu instid0(VALU_DEP_3) | instid1(SALU_CYCLE_1)
	v_add_nc_u64_e32 v[8:9], s[4:5], v[8:9]
	global_load_i8 v1, v[6:7], off th:TH_LOAD_NT
	global_load_i8 v10, v[8:9], off
	s_wait_loadcnt 0x1
	v_cvt_f32_i32_e32 v1, v1
	s_wait_loadcnt 0x0
	v_cvt_f32_i32_e32 v6, v10
	s_delay_alu instid0(VALU_DEP_1)
	v_mul_f32_e32 v6, v1, v6
.LBB45_5:
	s_or_b32 exec_lo, exec_lo, s2
	v_dual_lshlrev_b32 v7, 2, v0 :: v_dual_lshlrev_b32 v1, 3, v0
	v_cmp_eq_u32_e64 s2, 0, v0
	v_cmp_ne_u32_e64 s3, 0, v0
	ds_store_b64 v1, v[2:3]
	ds_store_b32 v7, v6 offset:2048
	v_or_b32_e32 v12, 0x800, v7
	v_add_nc_u32_e32 v13, -8, v1
	s_wait_dscnt 0x0
	s_barrier_signal -1
	s_barrier_wait -1
	s_and_saveexec_b32 s4, s3
	s_cbranch_execz .LBB45_9
; %bb.6:
	ds_load_b64 v[8:9], v13
	s_mov_b32 s5, exec_lo
	s_wait_dscnt 0x0
	v_cmpx_eq_u64_e64 v[2:3], v[8:9]
	s_cbranch_execz .LBB45_8
; %bb.7:
	v_add_nc_u32_e32 v7, -4, v12
	ds_load_b32 v7, v7
	s_wait_dscnt 0x0
	v_add_f32_e32 v6, v6, v7
.LBB45_8:
	s_or_b32 exec_lo, exec_lo, s5
.LBB45_9:
	s_delay_alu instid0(SALU_CYCLE_1)
	s_or_b32 exec_lo, exec_lo, s4
	v_cmp_lt_u32_e64 s4, 1, v0
	v_add_nc_u32_e32 v14, -16, v1
	s_barrier_signal -1
	s_barrier_wait -1
	ds_store_b32 v12, v6
	s_wait_dscnt 0x0
	s_barrier_signal -1
	s_barrier_wait -1
	s_and_saveexec_b32 s5, s4
	s_cbranch_execz .LBB45_13
; %bb.10:
	ds_load_b64 v[8:9], v14
	s_mov_b32 s6, exec_lo
	s_wait_dscnt 0x0
	v_cmpx_eq_u64_e64 v[2:3], v[8:9]
	s_cbranch_execz .LBB45_12
; %bb.11:
	v_add_nc_u32_e32 v7, -8, v12
	ds_load_b32 v7, v7
	s_wait_dscnt 0x0
	v_add_f32_e32 v6, v6, v7
.LBB45_12:
	s_or_b32 exec_lo, exec_lo, s6
.LBB45_13:
	s_delay_alu instid0(SALU_CYCLE_1)
	s_or_b32 exec_lo, exec_lo, s5
	v_cmp_lt_u32_e64 s5, 3, v0
	v_subrev_nc_u32_e32 v15, 32, v1
	s_barrier_signal -1
	s_barrier_wait -1
	ds_store_b32 v12, v6
	s_wait_dscnt 0x0
	s_barrier_signal -1
	s_barrier_wait -1
	s_and_saveexec_b32 s6, s5
	s_cbranch_execz .LBB45_17
; %bb.14:
	ds_load_b64 v[8:9], v15
	s_mov_b32 s7, exec_lo
	s_wait_dscnt 0x0
	v_cmpx_eq_u64_e64 v[2:3], v[8:9]
	s_cbranch_execz .LBB45_16
; %bb.15:
	v_add_nc_u32_e32 v7, -16, v12
	ds_load_b32 v7, v7
	s_wait_dscnt 0x0
	v_add_f32_e32 v6, v6, v7
.LBB45_16:
	s_or_b32 exec_lo, exec_lo, s7
.LBB45_17:
	s_delay_alu instid0(SALU_CYCLE_1)
	s_or_b32 exec_lo, exec_lo, s6
	v_cmp_lt_u32_e64 s6, 7, v0
	v_subrev_nc_u32_e32 v16, 64, v1
	s_barrier_signal -1
	s_barrier_wait -1
	ds_store_b32 v12, v6
	s_wait_dscnt 0x0
	s_barrier_signal -1
	s_barrier_wait -1
	s_and_saveexec_b32 s7, s6
	s_cbranch_execz .LBB45_21
; %bb.18:
	ds_load_b64 v[8:9], v16
	s_mov_b32 s8, exec_lo
	s_wait_dscnt 0x0
	v_cmpx_eq_u64_e64 v[2:3], v[8:9]
	s_cbranch_execz .LBB45_20
; %bb.19:
	v_subrev_nc_u32_e32 v7, 32, v12
	ds_load_b32 v7, v7
	s_wait_dscnt 0x0
	v_add_f32_e32 v6, v6, v7
.LBB45_20:
	s_or_b32 exec_lo, exec_lo, s8
.LBB45_21:
	s_delay_alu instid0(SALU_CYCLE_1)
	s_or_b32 exec_lo, exec_lo, s7
	v_cmp_lt_u32_e64 s7, 15, v0
	v_add_nc_u32_e32 v17, 0xffffff80, v1
	s_barrier_signal -1
	s_barrier_wait -1
	ds_store_b32 v12, v6
	s_wait_dscnt 0x0
	s_barrier_signal -1
	s_barrier_wait -1
	s_and_saveexec_b32 s8, s7
	s_cbranch_execz .LBB45_25
; %bb.22:
	ds_load_b64 v[8:9], v17
	s_mov_b32 s9, exec_lo
	s_wait_dscnt 0x0
	v_cmpx_eq_u64_e64 v[2:3], v[8:9]
	s_cbranch_execz .LBB45_24
; %bb.23:
	v_subrev_nc_u32_e32 v7, 64, v12
	ds_load_b32 v7, v7
	s_wait_dscnt 0x0
	v_add_f32_e32 v6, v6, v7
.LBB45_24:
	s_or_b32 exec_lo, exec_lo, s9
.LBB45_25:
	s_delay_alu instid0(SALU_CYCLE_1)
	s_or_b32 exec_lo, exec_lo, s8
	v_cmp_lt_u32_e64 s8, 31, v0
	v_add_nc_u32_e32 v18, 0xffffff00, v1
	s_barrier_signal -1
	s_barrier_wait -1
	ds_store_b32 v12, v6
	s_wait_dscnt 0x0
	s_barrier_signal -1
	s_barrier_wait -1
	s_and_saveexec_b32 s9, s8
	s_cbranch_execz .LBB45_29
; %bb.26:
	ds_load_b64 v[8:9], v18
	s_mov_b32 s10, exec_lo
	s_wait_dscnt 0x0
	v_cmpx_eq_u64_e64 v[2:3], v[8:9]
	s_cbranch_execz .LBB45_28
; %bb.27:
	v_add_nc_u32_e32 v7, 0xffffff80, v12
	ds_load_b32 v7, v7
	s_wait_dscnt 0x0
	v_add_f32_e32 v6, v6, v7
.LBB45_28:
	s_or_b32 exec_lo, exec_lo, s10
.LBB45_29:
	s_delay_alu instid0(SALU_CYCLE_1)
	s_or_b32 exec_lo, exec_lo, s9
	v_cmp_lt_u32_e64 s9, 63, v0
	v_add_nc_u32_e32 v19, 0xfffffe00, v1
	s_barrier_signal -1
	s_barrier_wait -1
	ds_store_b32 v12, v6
	s_wait_dscnt 0x0
	s_barrier_signal -1
	s_barrier_wait -1
	s_and_saveexec_b32 s10, s9
	s_cbranch_execz .LBB45_33
; %bb.30:
	ds_load_b64 v[8:9], v19
	s_mov_b32 s11, exec_lo
	s_wait_dscnt 0x0
	v_cmpx_eq_u64_e64 v[2:3], v[8:9]
	s_cbranch_execz .LBB45_32
; %bb.31:
	v_add_nc_u32_e32 v7, 0xffffff00, v12
	ds_load_b32 v7, v7
	s_wait_dscnt 0x0
	v_add_f32_e32 v6, v6, v7
.LBB45_32:
	s_or_b32 exec_lo, exec_lo, s11
.LBB45_33:
	;; [unrolled: 26-line block ×3, first 2 shown]
	s_delay_alu instid0(SALU_CYCLE_1)
	s_or_b32 exec_lo, exec_lo, s11
	s_load_b64 s[28:29], s[0:1], 0x30
	v_cmp_gt_u32_e64 s11, 0xff, v0
	s_barrier_signal -1
	s_barrier_wait -1
	ds_store_b32 v12, v6
	s_wait_dscnt 0x0
	s_barrier_signal -1
	s_barrier_wait -1
	s_and_saveexec_b32 s13, s11
	s_cbranch_execz .LBB45_40
; %bb.38:
	ds_load_b64 v[8:9], v1 offset:8
	v_cmp_lt_i64_e64 s12, -1, v[2:3]
	s_wait_dscnt 0x0
	v_cmp_ne_u64_e32 vcc_lo, v[2:3], v[8:9]
	s_and_b32 s12, s12, vcc_lo
	s_delay_alu instid0(SALU_CYCLE_1)
	s_and_b32 exec_lo, exec_lo, s12
	s_cbranch_execz .LBB45_40
; %bb.39:
	s_wait_kmcnt 0x0
	v_lshl_add_u64 v[8:9], v[2:3], 2, s[28:29]
	global_load_b32 v7, v[8:9], off
	s_wait_loadcnt 0x0
	v_fmac_f32_e32 v7, s14, v6
	global_store_b32 v[8:9], v7, off
.LBB45_40:
	s_wait_xcnt 0x0
	s_or_b32 exec_lo, exec_lo, s13
	v_cmp_lt_i64_e64 s12, s[18:19], 2
	s_and_b32 vcc_lo, exec_lo, s12
	s_cbranch_vccnz .LBB45_87
; %bb.41:
	v_dual_mov_b32 v7, 0 :: v_dual_lshlrev_b32 v6, 4, v0
	s_lshl_b64 s[34:35], s[34:35], 12
	v_add_nc_u64_e32 v[4:5], 0x100, v[4:5]
	s_add_nc_u64 s[20:21], s[20:21], s[34:35]
	s_ashr_i32 s13, s26, 31
	v_add_nc_u64_e32 v[2:3], s[20:21], v[6:7]
	s_mov_b32 s12, s26
	v_dual_add_nc_u32 v21, -4, v12 :: v_dual_add_nc_u32 v22, -8, v12
	v_add_nc_u32_e32 v23, -16, v12
	v_subrev_nc_u32_e32 v24, 32, v12
	v_subrev_nc_u32_e32 v25, 64, v12
	v_add_nc_u64_e32 v[8:9], 0x1000, v[2:3]
	v_add_nc_u32_e32 v26, 0xffffff80, v12
	v_add_nc_u32_e32 v27, 0xffffff00, v12
	;; [unrolled: 1-line block ×3, first 2 shown]
	s_sub_nc_u64 s[12:13], 0, s[12:13]
	s_add_nc_u64 s[18:19], s[18:19], -1
	s_mov_b32 s27, 0
	s_mov_b64 s[20:21], 0
	s_add_nc_u64 s[30:31], s[30:31], s[12:13]
	s_branch .LBB45_43
.LBB45_42:                              ;   in Loop: Header=BB45_43 Depth=1
	s_wait_xcnt 0x0
	s_or_b32 exec_lo, exec_lo, s13
	s_add_nc_u64 s[20:21], s[20:21], 1
	v_add_nc_u64_e32 v[4:5], 0x100, v[4:5]
	v_cmp_le_u64_e64 s12, s[18:19], s[20:21]
	v_add_nc_u64_e32 v[8:9], 0x1000, v[8:9]
	s_and_b32 vcc_lo, exec_lo, s12
	s_cbranch_vccnz .LBB45_87
.LBB45_43:                              ; =>This Inner Loop Header: Depth=1
	v_mov_b64_e32 v[2:3], -1
	v_mov_b32_e32 v6, 0
	s_mov_b32 s12, exec_lo
	v_cmpx_gt_i64_e64 s[16:17], v[4:5]
	s_cbranch_execz .LBB45_45
; %bb.44:                               ;   in Loop: Header=BB45_43 Depth=1
	global_load_b128 v[30:33], v[8:9], off th:TH_LOAD_NT
	v_add_nc_u64_e32 v[2:3], s[22:23], v[4:5]
	s_wait_loadcnt 0x0
	v_add_nc_u64_e32 v[10:11], s[30:31], v[32:33]
	global_load_i8 v6, v[2:3], off th:TH_LOAD_NT
	global_load_i8 v29, v[10:11], off
	s_wait_xcnt 0x1
	v_sub_nc_u64_e64 v[2:3], v[30:31], s[26:27]
	s_wait_loadcnt 0x1
	v_cvt_f32_i32_e32 v6, v6
	s_wait_loadcnt 0x0
	v_cvt_f32_i32_e32 v10, v29
	s_delay_alu instid0(VALU_DEP_1)
	v_mul_f32_e32 v6, v6, v10
.LBB45_45:                              ;   in Loop: Header=BB45_43 Depth=1
	s_or_b32 exec_lo, exec_lo, s12
	s_and_saveexec_b32 s12, s2
	s_cbranch_execz .LBB45_52
; %bb.46:                               ;   in Loop: Header=BB45_43 Depth=1
	ds_load_b64 v[10:11], v7 offset:2040
	s_mov_b32 s13, exec_lo
	s_wait_dscnt 0x0
	v_cmpx_ne_u64_e64 v[2:3], v[10:11]
	s_xor_b32 s13, exec_lo, s13
	s_cbranch_execz .LBB45_49
; %bb.47:                               ;   in Loop: Header=BB45_43 Depth=1
	v_cmp_gt_i64_e32 vcc_lo, 0, v[10:11]
	s_cbranch_vccnz .LBB45_49
; %bb.48:                               ;   in Loop: Header=BB45_43 Depth=1
	v_lshlrev_b64_e32 v[10:11], 2, v[10:11]
	ds_load_b32 v30, v7 offset:3068
	s_wait_kmcnt 0x0
	v_add_nc_u64_e32 v[10:11], s[28:29], v[10:11]
	global_load_b32 v29, v[10:11], off
	s_wait_loadcnt_dscnt 0x0
	v_fmac_f32_e32 v29, s14, v30
	global_store_b32 v[10:11], v29, off
.LBB45_49:                              ;   in Loop: Header=BB45_43 Depth=1
	s_wait_xcnt 0x0
	s_and_not1_saveexec_b32 s13, s13
	s_cbranch_execz .LBB45_51
; %bb.50:                               ;   in Loop: Header=BB45_43 Depth=1
	ds_load_b32 v10, v7 offset:3068
	s_wait_dscnt 0x0
	v_add_f32_e32 v6, v6, v10
.LBB45_51:                              ;   in Loop: Header=BB45_43 Depth=1
	s_or_b32 exec_lo, exec_lo, s13
.LBB45_52:                              ;   in Loop: Header=BB45_43 Depth=1
	s_delay_alu instid0(SALU_CYCLE_1)
	s_or_b32 exec_lo, exec_lo, s12
	s_wait_storecnt 0x0
	s_barrier_signal -1
	s_barrier_wait -1
	ds_store_b64 v1, v[2:3]
	ds_store_b32 v12, v6
	s_wait_dscnt 0x0
	s_barrier_signal -1
	s_barrier_wait -1
	s_and_saveexec_b32 s12, s3
	s_cbranch_execz .LBB45_56
; %bb.53:                               ;   in Loop: Header=BB45_43 Depth=1
	ds_load_b64 v[10:11], v13
	s_mov_b32 s13, exec_lo
	s_wait_dscnt 0x0
	v_cmpx_eq_u64_e64 v[2:3], v[10:11]
	s_cbranch_execz .LBB45_55
; %bb.54:                               ;   in Loop: Header=BB45_43 Depth=1
	ds_load_b32 v10, v21
	s_wait_dscnt 0x0
	v_add_f32_e32 v6, v6, v10
.LBB45_55:                              ;   in Loop: Header=BB45_43 Depth=1
	s_or_b32 exec_lo, exec_lo, s13
.LBB45_56:                              ;   in Loop: Header=BB45_43 Depth=1
	s_delay_alu instid0(SALU_CYCLE_1)
	s_or_b32 exec_lo, exec_lo, s12
	s_barrier_signal -1
	s_barrier_wait -1
	ds_store_b32 v12, v6
	s_wait_dscnt 0x0
	s_barrier_signal -1
	s_barrier_wait -1
	s_and_saveexec_b32 s12, s4
	s_cbranch_execz .LBB45_60
; %bb.57:                               ;   in Loop: Header=BB45_43 Depth=1
	ds_load_b64 v[10:11], v14
	s_mov_b32 s13, exec_lo
	s_wait_dscnt 0x0
	v_cmpx_eq_u64_e64 v[2:3], v[10:11]
	s_cbranch_execz .LBB45_59
; %bb.58:                               ;   in Loop: Header=BB45_43 Depth=1
	ds_load_b32 v10, v22
	s_wait_dscnt 0x0
	v_add_f32_e32 v6, v6, v10
.LBB45_59:                              ;   in Loop: Header=BB45_43 Depth=1
	s_or_b32 exec_lo, exec_lo, s13
.LBB45_60:                              ;   in Loop: Header=BB45_43 Depth=1
	s_delay_alu instid0(SALU_CYCLE_1)
	s_or_b32 exec_lo, exec_lo, s12
	s_barrier_signal -1
	s_barrier_wait -1
	;; [unrolled: 23-line block ×8, first 2 shown]
	ds_store_b32 v12, v6
	s_wait_dscnt 0x0
	s_barrier_signal -1
	s_barrier_wait -1
	s_and_saveexec_b32 s13, s11
	s_cbranch_execz .LBB45_42
; %bb.85:                               ;   in Loop: Header=BB45_43 Depth=1
	ds_load_b64 v[10:11], v1 offset:8
	v_cmp_lt_i64_e64 s12, -1, v[2:3]
	s_wait_dscnt 0x0
	v_cmp_ne_u64_e32 vcc_lo, v[2:3], v[10:11]
	s_and_b32 s12, s12, vcc_lo
	s_delay_alu instid0(SALU_CYCLE_1)
	s_and_b32 exec_lo, exec_lo, s12
	s_cbranch_execz .LBB45_42
; %bb.86:                               ;   in Loop: Header=BB45_43 Depth=1
	s_wait_kmcnt 0x0
	v_lshl_add_u64 v[10:11], v[2:3], 2, s[28:29]
	global_load_b32 v29, v[10:11], off
	s_wait_loadcnt 0x0
	v_fmac_f32_e32 v29, s14, v6
	global_store_b32 v[10:11], v29, off
	s_branch .LBB45_42
.LBB45_87:
	s_load_b128 s[0:3], s[0:1], 0x38
	s_mov_b32 s4, exec_lo
	v_cmpx_eq_u32_e32 0xff, v0
	s_cbranch_execz .LBB45_89
; %bb.88:
	v_dual_mov_b32 v0, 0 :: v_dual_mul_f32 v1, s14, v6
	s_lshl_b64 s[4:5], s[24:25], 3
	s_lshl_b64 s[6:7], s[24:25], 2
	s_wait_kmcnt 0x0
	s_add_nc_u64 s[0:1], s[0:1], s[4:5]
	s_add_nc_u64 s[2:3], s[2:3], s[6:7]
	s_clause 0x1
	global_store_b64 v0, v[2:3], s[0:1] th:TH_STORE_NT
	global_store_b32 v0, v1, s[2:3] th:TH_STORE_NT
.LBB45_89:
	s_endpgm
	.section	.rodata,"a",@progbits
	.p2align	6, 0x0
	.amdhsa_kernel _ZN9rocsparseL26coomvn_aos_segmented_loopsILj256ElaaffEEvlT0_NS_24const_host_device_scalarIT4_EEPKS1_PKT1_PKT2_PT3_PS1_PS3_21rocsparse_index_base_b
		.amdhsa_group_segment_fixed_size 3072
		.amdhsa_private_segment_fixed_size 0
		.amdhsa_kernarg_size 80
		.amdhsa_user_sgpr_count 2
		.amdhsa_user_sgpr_dispatch_ptr 0
		.amdhsa_user_sgpr_queue_ptr 0
		.amdhsa_user_sgpr_kernarg_segment_ptr 1
		.amdhsa_user_sgpr_dispatch_id 0
		.amdhsa_user_sgpr_kernarg_preload_length 0
		.amdhsa_user_sgpr_kernarg_preload_offset 0
		.amdhsa_user_sgpr_private_segment_size 0
		.amdhsa_wavefront_size32 1
		.amdhsa_uses_dynamic_stack 0
		.amdhsa_enable_private_segment 0
		.amdhsa_system_sgpr_workgroup_id_x 1
		.amdhsa_system_sgpr_workgroup_id_y 0
		.amdhsa_system_sgpr_workgroup_id_z 0
		.amdhsa_system_sgpr_workgroup_info 0
		.amdhsa_system_vgpr_workitem_id 0
		.amdhsa_next_free_vgpr 34
		.amdhsa_next_free_sgpr 36
		.amdhsa_named_barrier_count 0
		.amdhsa_reserve_vcc 1
		.amdhsa_float_round_mode_32 0
		.amdhsa_float_round_mode_16_64 0
		.amdhsa_float_denorm_mode_32 3
		.amdhsa_float_denorm_mode_16_64 3
		.amdhsa_fp16_overflow 0
		.amdhsa_memory_ordered 1
		.amdhsa_forward_progress 1
		.amdhsa_inst_pref_size 22
		.amdhsa_round_robin_scheduling 0
		.amdhsa_exception_fp_ieee_invalid_op 0
		.amdhsa_exception_fp_denorm_src 0
		.amdhsa_exception_fp_ieee_div_zero 0
		.amdhsa_exception_fp_ieee_overflow 0
		.amdhsa_exception_fp_ieee_underflow 0
		.amdhsa_exception_fp_ieee_inexact 0
		.amdhsa_exception_int_div_zero 0
	.end_amdhsa_kernel
	.section	.text._ZN9rocsparseL26coomvn_aos_segmented_loopsILj256ElaaffEEvlT0_NS_24const_host_device_scalarIT4_EEPKS1_PKT1_PKT2_PT3_PS1_PS3_21rocsparse_index_base_b,"axG",@progbits,_ZN9rocsparseL26coomvn_aos_segmented_loopsILj256ElaaffEEvlT0_NS_24const_host_device_scalarIT4_EEPKS1_PKT1_PKT2_PT3_PS1_PS3_21rocsparse_index_base_b,comdat
.Lfunc_end45:
	.size	_ZN9rocsparseL26coomvn_aos_segmented_loopsILj256ElaaffEEvlT0_NS_24const_host_device_scalarIT4_EEPKS1_PKT1_PKT2_PT3_PS1_PS3_21rocsparse_index_base_b, .Lfunc_end45-_ZN9rocsparseL26coomvn_aos_segmented_loopsILj256ElaaffEEvlT0_NS_24const_host_device_scalarIT4_EEPKS1_PKT1_PKT2_PT3_PS1_PS3_21rocsparse_index_base_b
                                        ; -- End function
	.set _ZN9rocsparseL26coomvn_aos_segmented_loopsILj256ElaaffEEvlT0_NS_24const_host_device_scalarIT4_EEPKS1_PKT1_PKT2_PT3_PS1_PS3_21rocsparse_index_base_b.num_vgpr, 34
	.set _ZN9rocsparseL26coomvn_aos_segmented_loopsILj256ElaaffEEvlT0_NS_24const_host_device_scalarIT4_EEPKS1_PKT1_PKT2_PT3_PS1_PS3_21rocsparse_index_base_b.num_agpr, 0
	.set _ZN9rocsparseL26coomvn_aos_segmented_loopsILj256ElaaffEEvlT0_NS_24const_host_device_scalarIT4_EEPKS1_PKT1_PKT2_PT3_PS1_PS3_21rocsparse_index_base_b.numbered_sgpr, 36
	.set _ZN9rocsparseL26coomvn_aos_segmented_loopsILj256ElaaffEEvlT0_NS_24const_host_device_scalarIT4_EEPKS1_PKT1_PKT2_PT3_PS1_PS3_21rocsparse_index_base_b.num_named_barrier, 0
	.set _ZN9rocsparseL26coomvn_aos_segmented_loopsILj256ElaaffEEvlT0_NS_24const_host_device_scalarIT4_EEPKS1_PKT1_PKT2_PT3_PS1_PS3_21rocsparse_index_base_b.private_seg_size, 0
	.set _ZN9rocsparseL26coomvn_aos_segmented_loopsILj256ElaaffEEvlT0_NS_24const_host_device_scalarIT4_EEPKS1_PKT1_PKT2_PT3_PS1_PS3_21rocsparse_index_base_b.uses_vcc, 1
	.set _ZN9rocsparseL26coomvn_aos_segmented_loopsILj256ElaaffEEvlT0_NS_24const_host_device_scalarIT4_EEPKS1_PKT1_PKT2_PT3_PS1_PS3_21rocsparse_index_base_b.uses_flat_scratch, 0
	.set _ZN9rocsparseL26coomvn_aos_segmented_loopsILj256ElaaffEEvlT0_NS_24const_host_device_scalarIT4_EEPKS1_PKT1_PKT2_PT3_PS1_PS3_21rocsparse_index_base_b.has_dyn_sized_stack, 0
	.set _ZN9rocsparseL26coomvn_aos_segmented_loopsILj256ElaaffEEvlT0_NS_24const_host_device_scalarIT4_EEPKS1_PKT1_PKT2_PT3_PS1_PS3_21rocsparse_index_base_b.has_recursion, 0
	.set _ZN9rocsparseL26coomvn_aos_segmented_loopsILj256ElaaffEEvlT0_NS_24const_host_device_scalarIT4_EEPKS1_PKT1_PKT2_PT3_PS1_PS3_21rocsparse_index_base_b.has_indirect_call, 0
	.section	.AMDGPU.csdata,"",@progbits
; Kernel info:
; codeLenInByte = 2756
; TotalNumSgprs: 38
; NumVgprs: 34
; ScratchSize: 0
; MemoryBound: 0
; FloatMode: 240
; IeeeMode: 1
; LDSByteSize: 3072 bytes/workgroup (compile time only)
; SGPRBlocks: 0
; VGPRBlocks: 2
; NumSGPRsForWavesPerEU: 38
; NumVGPRsForWavesPerEU: 34
; NamedBarCnt: 0
; Occupancy: 16
; WaveLimiterHint : 1
; COMPUTE_PGM_RSRC2:SCRATCH_EN: 0
; COMPUTE_PGM_RSRC2:USER_SGPR: 2
; COMPUTE_PGM_RSRC2:TRAP_HANDLER: 0
; COMPUTE_PGM_RSRC2:TGID_X_EN: 1
; COMPUTE_PGM_RSRC2:TGID_Y_EN: 0
; COMPUTE_PGM_RSRC2:TGID_Z_EN: 0
; COMPUTE_PGM_RSRC2:TIDIG_COMP_CNT: 0
	.section	.text._ZN9rocsparseL23coomvn_aos_atomic_loopsILj256ELj1EiDF16_DF16_ffEEvlNS_24const_host_device_scalarIT5_EEPKT1_PKT2_PKT3_PT4_21rocsparse_index_base_b,"axG",@progbits,_ZN9rocsparseL23coomvn_aos_atomic_loopsILj256ELj1EiDF16_DF16_ffEEvlNS_24const_host_device_scalarIT5_EEPKT1_PKT2_PKT3_PT4_21rocsparse_index_base_b,comdat
	.globl	_ZN9rocsparseL23coomvn_aos_atomic_loopsILj256ELj1EiDF16_DF16_ffEEvlNS_24const_host_device_scalarIT5_EEPKT1_PKT2_PKT3_PT4_21rocsparse_index_base_b ; -- Begin function _ZN9rocsparseL23coomvn_aos_atomic_loopsILj256ELj1EiDF16_DF16_ffEEvlNS_24const_host_device_scalarIT5_EEPKT1_PKT2_PKT3_PT4_21rocsparse_index_base_b
	.p2align	8
	.type	_ZN9rocsparseL23coomvn_aos_atomic_loopsILj256ELj1EiDF16_DF16_ffEEvlNS_24const_host_device_scalarIT5_EEPKT1_PKT2_PKT3_PT4_21rocsparse_index_base_b,@function
_ZN9rocsparseL23coomvn_aos_atomic_loopsILj256ELj1EiDF16_DF16_ffEEvlNS_24const_host_device_scalarIT5_EEPKT1_PKT2_PKT3_PT4_21rocsparse_index_base_b: ; @_ZN9rocsparseL23coomvn_aos_atomic_loopsILj256ELj1EiDF16_DF16_ffEEvlNS_24const_host_device_scalarIT5_EEPKT1_PKT2_PKT3_PT4_21rocsparse_index_base_b
; %bb.0:
	s_clause 0x1
	s_load_b64 s[2:3], s[0:1], 0x30
	s_load_b128 s[4:7], s[0:1], 0x0
	s_wait_kmcnt 0x0
	s_bitcmp1_b32 s3, 0
	s_cselect_b32 s3, -1, 0
	s_delay_alu instid0(SALU_CYCLE_1)
	s_and_b32 vcc_lo, exec_lo, s3
	s_cbranch_vccnz .LBB46_2
; %bb.1:
	s_load_b32 s6, s[6:7], 0x0
.LBB46_2:
	s_wait_kmcnt 0x0
	s_cmp_eq_f32 s6, 0
	s_cbranch_scc1 .LBB46_42
; %bb.3:
	s_bfe_u32 s3, ttmp6, 0x4000c
	s_and_b32 s7, ttmp6, 15
	s_add_co_i32 s3, s3, 1
	s_getreg_b32 s8, hwreg(HW_REG_IB_STS2, 6, 4)
	s_mul_i32 s3, ttmp9, s3
	v_dual_mov_b32 v3, 0 :: v_dual_mov_b32 v1, -1
	s_add_co_i32 s7, s7, s3
	s_cmp_eq_u32 s8, 0
	s_cselect_b32 s3, ttmp9, s7
	s_delay_alu instid0(SALU_CYCLE_1) | instskip(SKIP_1) | instid1(VALU_DEP_1)
	v_lshl_or_b32 v2, s3, 8, v0
	s_mov_b32 s3, exec_lo
	v_cmpx_gt_i64_e64 s[4:5], v[2:3]
	s_cbranch_execz .LBB46_5
; %bb.4:
	s_clause 0x1
	s_load_b128 s[8:11], s[0:1], 0x10
	s_load_b64 s[4:5], s[0:1], 0x20
	s_wait_kmcnt 0x0
	v_lshl_add_u64 v[4:5], v[2:3], 3, s[8:9]
	v_lshl_add_u64 v[2:3], v[2:3], 1, s[10:11]
	global_load_b64 v[4:5], v[4:5], off th:TH_LOAD_NT
	s_wait_loadcnt 0x0
	v_subrev_nc_u32_e32 v1, s2, v5
	global_load_u16 v5, v[2:3], off
	global_load_u16 v6, v1, s[4:5] scale_offset
	s_wait_xcnt 0x0
	v_subrev_nc_u32_e32 v1, s2, v4
	s_wait_loadcnt 0x1
	v_cvt_f32_f16_e32 v2, v5
	s_wait_loadcnt 0x0
	v_cvt_f32_f16_e32 v3, v6
	s_delay_alu instid0(VALU_DEP_1)
	v_mul_f32_e32 v3, v2, v3
.LBB46_5:
	s_or_b32 exec_lo, exec_lo, s3
	v_lshlrev_b32_e32 v2, 2, v0
	s_mov_b32 s2, exec_lo
	s_delay_alu instid0(VALU_DEP_1)
	v_or_b32_e32 v4, 0x400, v2
	ds_store_2addr_stride64_b32 v2, v1, v3 offset1:4
	s_wait_dscnt 0x0
	s_barrier_signal -1
	s_barrier_wait -1
	v_cmpx_ne_u32_e32 0, v0
	s_cbranch_execz .LBB46_9
; %bb.6:
	v_add_nc_u32_e32 v5, -4, v2
	s_mov_b32 s3, exec_lo
	ds_load_b32 v5, v5
	s_wait_dscnt 0x0
	v_cmpx_eq_u32_e64 v1, v5
	s_cbranch_execz .LBB46_8
; %bb.7:
	v_add_nc_u32_e32 v5, -4, v4
	ds_load_b32 v5, v5
	s_wait_dscnt 0x0
	v_add_f32_e32 v3, v3, v5
.LBB46_8:
	s_or_b32 exec_lo, exec_lo, s3
.LBB46_9:
	s_delay_alu instid0(SALU_CYCLE_1) | instskip(NEXT) | instid1(SALU_CYCLE_1)
	s_or_b32 exec_lo, exec_lo, s2
	s_mov_b32 s2, exec_lo
	s_barrier_signal -1
	s_barrier_wait -1
	ds_store_b32 v4, v3
	s_wait_dscnt 0x0
	s_barrier_signal -1
	s_barrier_wait -1
	v_cmpx_lt_u32_e32 1, v0
	s_cbranch_execz .LBB46_13
; %bb.10:
	v_add_nc_u32_e32 v5, -8, v2
	s_mov_b32 s3, exec_lo
	ds_load_b32 v5, v5
	s_wait_dscnt 0x0
	v_cmpx_eq_u32_e64 v1, v5
	s_cbranch_execz .LBB46_12
; %bb.11:
	v_add_nc_u32_e32 v5, -8, v4
	ds_load_b32 v5, v5
	s_wait_dscnt 0x0
	v_add_f32_e32 v3, v3, v5
.LBB46_12:
	s_or_b32 exec_lo, exec_lo, s3
.LBB46_13:
	s_delay_alu instid0(SALU_CYCLE_1) | instskip(NEXT) | instid1(SALU_CYCLE_1)
	s_or_b32 exec_lo, exec_lo, s2
	s_mov_b32 s2, exec_lo
	s_barrier_signal -1
	s_barrier_wait -1
	ds_store_b32 v4, v3
	s_wait_dscnt 0x0
	s_barrier_signal -1
	s_barrier_wait -1
	v_cmpx_lt_u32_e32 3, v0
	;; [unrolled: 26-line block ×3, first 2 shown]
	s_cbranch_execz .LBB46_21
; %bb.18:
	v_subrev_nc_u32_e32 v5, 32, v2
	s_mov_b32 s3, exec_lo
	ds_load_b32 v5, v5
	s_wait_dscnt 0x0
	v_cmpx_eq_u32_e64 v1, v5
	s_cbranch_execz .LBB46_20
; %bb.19:
	v_subrev_nc_u32_e32 v5, 32, v4
	ds_load_b32 v5, v5
	s_wait_dscnt 0x0
	v_add_f32_e32 v3, v3, v5
.LBB46_20:
	s_or_b32 exec_lo, exec_lo, s3
.LBB46_21:
	s_delay_alu instid0(SALU_CYCLE_1) | instskip(NEXT) | instid1(SALU_CYCLE_1)
	s_or_b32 exec_lo, exec_lo, s2
	s_mov_b32 s2, exec_lo
	s_barrier_signal -1
	s_barrier_wait -1
	ds_store_b32 v4, v3
	s_wait_dscnt 0x0
	s_barrier_signal -1
	s_barrier_wait -1
	v_cmpx_lt_u32_e32 15, v0
	s_cbranch_execz .LBB46_25
; %bb.22:
	v_subrev_nc_u32_e32 v5, 64, v2
	s_mov_b32 s3, exec_lo
	ds_load_b32 v5, v5
	s_wait_dscnt 0x0
	v_cmpx_eq_u32_e64 v1, v5
	s_cbranch_execz .LBB46_24
; %bb.23:
	v_subrev_nc_u32_e32 v5, 64, v4
	ds_load_b32 v5, v5
	s_wait_dscnt 0x0
	v_add_f32_e32 v3, v3, v5
.LBB46_24:
	s_or_b32 exec_lo, exec_lo, s3
.LBB46_25:
	s_delay_alu instid0(SALU_CYCLE_1) | instskip(NEXT) | instid1(SALU_CYCLE_1)
	s_or_b32 exec_lo, exec_lo, s2
	s_mov_b32 s2, exec_lo
	s_barrier_signal -1
	s_barrier_wait -1
	ds_store_b32 v4, v3
	s_wait_dscnt 0x0
	s_barrier_signal -1
	s_barrier_wait -1
	v_cmpx_lt_u32_e32 31, v0
	s_cbranch_execz .LBB46_29
; %bb.26:
	v_add_nc_u32_e32 v5, 0xffffff80, v2
	s_mov_b32 s3, exec_lo
	ds_load_b32 v5, v5
	s_wait_dscnt 0x0
	v_cmpx_eq_u32_e64 v1, v5
	s_cbranch_execz .LBB46_28
; %bb.27:
	v_add_nc_u32_e32 v5, 0xffffff80, v4
	ds_load_b32 v5, v5
	s_wait_dscnt 0x0
	v_add_f32_e32 v3, v3, v5
.LBB46_28:
	s_or_b32 exec_lo, exec_lo, s3
.LBB46_29:
	s_delay_alu instid0(SALU_CYCLE_1) | instskip(NEXT) | instid1(SALU_CYCLE_1)
	s_or_b32 exec_lo, exec_lo, s2
	s_mov_b32 s2, exec_lo
	s_barrier_signal -1
	s_barrier_wait -1
	ds_store_b32 v4, v3
	s_wait_dscnt 0x0
	s_barrier_signal -1
	s_barrier_wait -1
	v_cmpx_lt_u32_e32 63, v0
	s_cbranch_execz .LBB46_33
; %bb.30:
	v_add_nc_u32_e32 v5, 0xffffff00, v2
	s_mov_b32 s3, exec_lo
	ds_load_b32 v5, v5
	s_wait_dscnt 0x0
	v_cmpx_eq_u32_e64 v1, v5
	s_cbranch_execz .LBB46_32
; %bb.31:
	v_add_nc_u32_e32 v5, 0xffffff00, v4
	ds_load_b32 v5, v5
	s_wait_dscnt 0x0
	v_add_f32_e32 v3, v3, v5
.LBB46_32:
	s_or_b32 exec_lo, exec_lo, s3
.LBB46_33:
	s_delay_alu instid0(SALU_CYCLE_1)
	s_or_b32 exec_lo, exec_lo, s2
	s_load_b64 s[2:3], s[0:1], 0x28
	s_wait_xcnt 0x0
	s_mov_b32 s0, exec_lo
	s_barrier_signal -1
	s_barrier_wait -1
	ds_store_b32 v4, v3
	s_wait_dscnt 0x0
	s_barrier_signal -1
	s_barrier_wait -1
	v_cmpx_lt_u32_e32 0x7f, v0
	s_cbranch_execz .LBB46_37
; %bb.34:
	v_add_nc_u32_e32 v5, 0xfffffe00, v2
	s_mov_b32 s1, exec_lo
	ds_load_b32 v5, v5
	s_wait_dscnt 0x0
	v_cmpx_eq_u32_e64 v1, v5
	s_cbranch_execz .LBB46_36
; %bb.35:
	v_add_nc_u32_e32 v5, 0xfffffe00, v4
	ds_load_b32 v5, v5
	s_wait_dscnt 0x0
	v_add_f32_e32 v3, v3, v5
.LBB46_36:
	s_or_b32 exec_lo, exec_lo, s1
.LBB46_37:
	s_delay_alu instid0(SALU_CYCLE_1) | instskip(NEXT) | instid1(SALU_CYCLE_1)
	s_or_b32 exec_lo, exec_lo, s0
	s_mov_b32 s1, exec_lo
	s_barrier_signal -1
	s_barrier_wait -1
	ds_store_b32 v4, v3
	s_wait_dscnt 0x0
	s_barrier_signal -1
	s_barrier_wait -1
	v_cmpx_gt_u32_e32 0xff, v0
	s_cbranch_execz .LBB46_40
; %bb.38:
	ds_load_b32 v2, v2 offset:4
	v_cmp_lt_i32_e64 s0, -1, v1
	s_wait_dscnt 0x0
	v_cmp_ne_u32_e32 vcc_lo, v1, v2
	s_and_b32 s0, s0, vcc_lo
	s_delay_alu instid0(SALU_CYCLE_1)
	s_and_b32 exec_lo, exec_lo, s0
	s_cbranch_execz .LBB46_40
; %bb.39:
	v_mul_f32_e32 v2, s6, v3
	s_wait_kmcnt 0x0
	global_atomic_add_f32 v1, v2, s[2:3] scale_offset scope:SCOPE_DEV
.LBB46_40:
	s_wait_xcnt 0x0
	s_or_b32 exec_lo, exec_lo, s1
	v_cmp_eq_u32_e32 vcc_lo, 0xff, v0
	v_cmp_lt_i32_e64 s0, -1, v1
	s_and_b32 s0, vcc_lo, s0
	s_delay_alu instid0(SALU_CYCLE_1)
	s_and_saveexec_b32 s1, s0
	s_cbranch_execz .LBB46_42
; %bb.41:
	v_mul_f32_e32 v0, s6, v3
	s_wait_kmcnt 0x0
	global_atomic_add_f32 v1, v0, s[2:3] scale_offset scope:SCOPE_DEV
.LBB46_42:
	s_endpgm
	.section	.rodata,"a",@progbits
	.p2align	6, 0x0
	.amdhsa_kernel _ZN9rocsparseL23coomvn_aos_atomic_loopsILj256ELj1EiDF16_DF16_ffEEvlNS_24const_host_device_scalarIT5_EEPKT1_PKT2_PKT3_PT4_21rocsparse_index_base_b
		.amdhsa_group_segment_fixed_size 2048
		.amdhsa_private_segment_fixed_size 0
		.amdhsa_kernarg_size 56
		.amdhsa_user_sgpr_count 2
		.amdhsa_user_sgpr_dispatch_ptr 0
		.amdhsa_user_sgpr_queue_ptr 0
		.amdhsa_user_sgpr_kernarg_segment_ptr 1
		.amdhsa_user_sgpr_dispatch_id 0
		.amdhsa_user_sgpr_kernarg_preload_length 0
		.amdhsa_user_sgpr_kernarg_preload_offset 0
		.amdhsa_user_sgpr_private_segment_size 0
		.amdhsa_wavefront_size32 1
		.amdhsa_uses_dynamic_stack 0
		.amdhsa_enable_private_segment 0
		.amdhsa_system_sgpr_workgroup_id_x 1
		.amdhsa_system_sgpr_workgroup_id_y 0
		.amdhsa_system_sgpr_workgroup_id_z 0
		.amdhsa_system_sgpr_workgroup_info 0
		.amdhsa_system_vgpr_workitem_id 0
		.amdhsa_next_free_vgpr 7
		.amdhsa_next_free_sgpr 12
		.amdhsa_named_barrier_count 0
		.amdhsa_reserve_vcc 1
		.amdhsa_float_round_mode_32 0
		.amdhsa_float_round_mode_16_64 0
		.amdhsa_float_denorm_mode_32 3
		.amdhsa_float_denorm_mode_16_64 3
		.amdhsa_fp16_overflow 0
		.amdhsa_memory_ordered 1
		.amdhsa_forward_progress 1
		.amdhsa_inst_pref_size 11
		.amdhsa_round_robin_scheduling 0
		.amdhsa_exception_fp_ieee_invalid_op 0
		.amdhsa_exception_fp_denorm_src 0
		.amdhsa_exception_fp_ieee_div_zero 0
		.amdhsa_exception_fp_ieee_overflow 0
		.amdhsa_exception_fp_ieee_underflow 0
		.amdhsa_exception_fp_ieee_inexact 0
		.amdhsa_exception_int_div_zero 0
	.end_amdhsa_kernel
	.section	.text._ZN9rocsparseL23coomvn_aos_atomic_loopsILj256ELj1EiDF16_DF16_ffEEvlNS_24const_host_device_scalarIT5_EEPKT1_PKT2_PKT3_PT4_21rocsparse_index_base_b,"axG",@progbits,_ZN9rocsparseL23coomvn_aos_atomic_loopsILj256ELj1EiDF16_DF16_ffEEvlNS_24const_host_device_scalarIT5_EEPKT1_PKT2_PKT3_PT4_21rocsparse_index_base_b,comdat
.Lfunc_end46:
	.size	_ZN9rocsparseL23coomvn_aos_atomic_loopsILj256ELj1EiDF16_DF16_ffEEvlNS_24const_host_device_scalarIT5_EEPKT1_PKT2_PKT3_PT4_21rocsparse_index_base_b, .Lfunc_end46-_ZN9rocsparseL23coomvn_aos_atomic_loopsILj256ELj1EiDF16_DF16_ffEEvlNS_24const_host_device_scalarIT5_EEPKT1_PKT2_PKT3_PT4_21rocsparse_index_base_b
                                        ; -- End function
	.set _ZN9rocsparseL23coomvn_aos_atomic_loopsILj256ELj1EiDF16_DF16_ffEEvlNS_24const_host_device_scalarIT5_EEPKT1_PKT2_PKT3_PT4_21rocsparse_index_base_b.num_vgpr, 7
	.set _ZN9rocsparseL23coomvn_aos_atomic_loopsILj256ELj1EiDF16_DF16_ffEEvlNS_24const_host_device_scalarIT5_EEPKT1_PKT2_PKT3_PT4_21rocsparse_index_base_b.num_agpr, 0
	.set _ZN9rocsparseL23coomvn_aos_atomic_loopsILj256ELj1EiDF16_DF16_ffEEvlNS_24const_host_device_scalarIT5_EEPKT1_PKT2_PKT3_PT4_21rocsparse_index_base_b.numbered_sgpr, 12
	.set _ZN9rocsparseL23coomvn_aos_atomic_loopsILj256ELj1EiDF16_DF16_ffEEvlNS_24const_host_device_scalarIT5_EEPKT1_PKT2_PKT3_PT4_21rocsparse_index_base_b.num_named_barrier, 0
	.set _ZN9rocsparseL23coomvn_aos_atomic_loopsILj256ELj1EiDF16_DF16_ffEEvlNS_24const_host_device_scalarIT5_EEPKT1_PKT2_PKT3_PT4_21rocsparse_index_base_b.private_seg_size, 0
	.set _ZN9rocsparseL23coomvn_aos_atomic_loopsILj256ELj1EiDF16_DF16_ffEEvlNS_24const_host_device_scalarIT5_EEPKT1_PKT2_PKT3_PT4_21rocsparse_index_base_b.uses_vcc, 1
	.set _ZN9rocsparseL23coomvn_aos_atomic_loopsILj256ELj1EiDF16_DF16_ffEEvlNS_24const_host_device_scalarIT5_EEPKT1_PKT2_PKT3_PT4_21rocsparse_index_base_b.uses_flat_scratch, 0
	.set _ZN9rocsparseL23coomvn_aos_atomic_loopsILj256ELj1EiDF16_DF16_ffEEvlNS_24const_host_device_scalarIT5_EEPKT1_PKT2_PKT3_PT4_21rocsparse_index_base_b.has_dyn_sized_stack, 0
	.set _ZN9rocsparseL23coomvn_aos_atomic_loopsILj256ELj1EiDF16_DF16_ffEEvlNS_24const_host_device_scalarIT5_EEPKT1_PKT2_PKT3_PT4_21rocsparse_index_base_b.has_recursion, 0
	.set _ZN9rocsparseL23coomvn_aos_atomic_loopsILj256ELj1EiDF16_DF16_ffEEvlNS_24const_host_device_scalarIT5_EEPKT1_PKT2_PKT3_PT4_21rocsparse_index_base_b.has_indirect_call, 0
	.section	.AMDGPU.csdata,"",@progbits
; Kernel info:
; codeLenInByte = 1308
; TotalNumSgprs: 14
; NumVgprs: 7
; ScratchSize: 0
; MemoryBound: 0
; FloatMode: 240
; IeeeMode: 1
; LDSByteSize: 2048 bytes/workgroup (compile time only)
; SGPRBlocks: 0
; VGPRBlocks: 0
; NumSGPRsForWavesPerEU: 14
; NumVGPRsForWavesPerEU: 7
; NamedBarCnt: 0
; Occupancy: 16
; WaveLimiterHint : 1
; COMPUTE_PGM_RSRC2:SCRATCH_EN: 0
; COMPUTE_PGM_RSRC2:USER_SGPR: 2
; COMPUTE_PGM_RSRC2:TRAP_HANDLER: 0
; COMPUTE_PGM_RSRC2:TGID_X_EN: 1
; COMPUTE_PGM_RSRC2:TGID_Y_EN: 0
; COMPUTE_PGM_RSRC2:TGID_Z_EN: 0
; COMPUTE_PGM_RSRC2:TIDIG_COMP_CNT: 0
	.section	.text._ZN9rocsparseL17coomvt_aos_kernelILj1024EiDF16_DF16_ffEEv20rocsparse_operation_lNS_24const_host_device_scalarIT4_EEPKT0_PKT1_PKT2_PT3_21rocsparse_index_base_b,"axG",@progbits,_ZN9rocsparseL17coomvt_aos_kernelILj1024EiDF16_DF16_ffEEv20rocsparse_operation_lNS_24const_host_device_scalarIT4_EEPKT0_PKT1_PKT2_PT3_21rocsparse_index_base_b,comdat
	.globl	_ZN9rocsparseL17coomvt_aos_kernelILj1024EiDF16_DF16_ffEEv20rocsparse_operation_lNS_24const_host_device_scalarIT4_EEPKT0_PKT1_PKT2_PT3_21rocsparse_index_base_b ; -- Begin function _ZN9rocsparseL17coomvt_aos_kernelILj1024EiDF16_DF16_ffEEv20rocsparse_operation_lNS_24const_host_device_scalarIT4_EEPKT0_PKT1_PKT2_PT3_21rocsparse_index_base_b
	.p2align	8
	.type	_ZN9rocsparseL17coomvt_aos_kernelILj1024EiDF16_DF16_ffEEv20rocsparse_operation_lNS_24const_host_device_scalarIT4_EEPKT0_PKT1_PKT2_PT3_21rocsparse_index_base_b,@function
_ZN9rocsparseL17coomvt_aos_kernelILj1024EiDF16_DF16_ffEEv20rocsparse_operation_lNS_24const_host_device_scalarIT4_EEPKT0_PKT1_PKT2_PT3_21rocsparse_index_base_b: ; @_ZN9rocsparseL17coomvt_aos_kernelILj1024EiDF16_DF16_ffEEv20rocsparse_operation_lNS_24const_host_device_scalarIT4_EEPKT0_PKT1_PKT2_PT3_21rocsparse_index_base_b
; %bb.0:
	s_clause 0x1
	s_load_b64 s[2:3], s[0:1], 0x38
	s_load_b128 s[4:7], s[0:1], 0x8
	s_wait_kmcnt 0x0
	s_bitcmp1_b32 s3, 0
	s_cselect_b32 s3, -1, 0
	s_delay_alu instid0(SALU_CYCLE_1)
	s_and_b32 vcc_lo, exec_lo, s3
	s_cbranch_vccnz .LBB47_2
; %bb.1:
	s_load_b32 s6, s[6:7], 0x0
.LBB47_2:
	s_wait_kmcnt 0x0
	s_cmp_eq_f32 s6, 0
	s_cbranch_scc1 .LBB47_5
; %bb.3:
	s_load_b32 s3, s[0:1], 0x4c
	s_bfe_u32 s7, ttmp6, 0x4000c
	s_and_b32 s8, ttmp6, 15
	s_add_co_i32 s7, s7, 1
	s_getreg_b32 s9, hwreg(HW_REG_IB_STS2, 6, 4)
	s_mul_i32 s7, ttmp9, s7
	v_mov_b32_e32 v1, 0
	s_add_co_i32 s8, s8, s7
	s_wait_kmcnt 0x0
	s_and_b32 s3, s3, 0xffff
	s_cmp_eq_u32 s9, 0
	s_cselect_b32 s7, ttmp9, s8
	s_delay_alu instid0(SALU_CYCLE_1) | instskip(SKIP_1) | instid1(VALU_DEP_1)
	v_mad_u32 v0, s7, s3, v0
	s_mov_b32 s3, exec_lo
	v_cmpx_gt_i64_e64 s[4:5], v[0:1]
	s_cbranch_execz .LBB47_5
; %bb.4:
	s_load_b256 s[8:15], s[0:1], 0x18
	s_wait_kmcnt 0x0
	v_lshl_add_u64 v[2:3], v[0:1], 3, s[8:9]
	v_lshl_add_u64 v[0:1], v[0:1], 1, s[10:11]
	global_load_b64 v[2:3], v[2:3], off
	global_load_u16 v0, v[0:1], off
	s_wait_loadcnt 0x1
	s_wait_xcnt 0x0
	v_subrev_nc_u32_e32 v1, s2, v2
	s_wait_loadcnt 0x0
	v_cvt_f32_f16_e32 v0, v0
	v_subrev_nc_u32_e32 v2, s2, v3
	global_load_u16 v1, v1, s[12:13] scale_offset
	v_mul_f32_e32 v0, s6, v0
	s_wait_loadcnt 0x0
	v_cvt_f32_f16_e32 v1, v1
	s_delay_alu instid0(VALU_DEP_1)
	v_mul_f32_e32 v0, v0, v1
	global_atomic_add_f32 v2, v0, s[14:15] scale_offset scope:SCOPE_DEV
.LBB47_5:
	s_endpgm
	.section	.rodata,"a",@progbits
	.p2align	6, 0x0
	.amdhsa_kernel _ZN9rocsparseL17coomvt_aos_kernelILj1024EiDF16_DF16_ffEEv20rocsparse_operation_lNS_24const_host_device_scalarIT4_EEPKT0_PKT1_PKT2_PT3_21rocsparse_index_base_b
		.amdhsa_group_segment_fixed_size 0
		.amdhsa_private_segment_fixed_size 0
		.amdhsa_kernarg_size 320
		.amdhsa_user_sgpr_count 2
		.amdhsa_user_sgpr_dispatch_ptr 0
		.amdhsa_user_sgpr_queue_ptr 0
		.amdhsa_user_sgpr_kernarg_segment_ptr 1
		.amdhsa_user_sgpr_dispatch_id 0
		.amdhsa_user_sgpr_kernarg_preload_length 0
		.amdhsa_user_sgpr_kernarg_preload_offset 0
		.amdhsa_user_sgpr_private_segment_size 0
		.amdhsa_wavefront_size32 1
		.amdhsa_uses_dynamic_stack 0
		.amdhsa_enable_private_segment 0
		.amdhsa_system_sgpr_workgroup_id_x 1
		.amdhsa_system_sgpr_workgroup_id_y 0
		.amdhsa_system_sgpr_workgroup_id_z 0
		.amdhsa_system_sgpr_workgroup_info 0
		.amdhsa_system_vgpr_workitem_id 0
		.amdhsa_next_free_vgpr 4
		.amdhsa_next_free_sgpr 16
		.amdhsa_named_barrier_count 0
		.amdhsa_reserve_vcc 1
		.amdhsa_float_round_mode_32 0
		.amdhsa_float_round_mode_16_64 0
		.amdhsa_float_denorm_mode_32 3
		.amdhsa_float_denorm_mode_16_64 3
		.amdhsa_fp16_overflow 0
		.amdhsa_memory_ordered 1
		.amdhsa_forward_progress 1
		.amdhsa_inst_pref_size 3
		.amdhsa_round_robin_scheduling 0
		.amdhsa_exception_fp_ieee_invalid_op 0
		.amdhsa_exception_fp_denorm_src 0
		.amdhsa_exception_fp_ieee_div_zero 0
		.amdhsa_exception_fp_ieee_overflow 0
		.amdhsa_exception_fp_ieee_underflow 0
		.amdhsa_exception_fp_ieee_inexact 0
		.amdhsa_exception_int_div_zero 0
	.end_amdhsa_kernel
	.section	.text._ZN9rocsparseL17coomvt_aos_kernelILj1024EiDF16_DF16_ffEEv20rocsparse_operation_lNS_24const_host_device_scalarIT4_EEPKT0_PKT1_PKT2_PT3_21rocsparse_index_base_b,"axG",@progbits,_ZN9rocsparseL17coomvt_aos_kernelILj1024EiDF16_DF16_ffEEv20rocsparse_operation_lNS_24const_host_device_scalarIT4_EEPKT0_PKT1_PKT2_PT3_21rocsparse_index_base_b,comdat
.Lfunc_end47:
	.size	_ZN9rocsparseL17coomvt_aos_kernelILj1024EiDF16_DF16_ffEEv20rocsparse_operation_lNS_24const_host_device_scalarIT4_EEPKT0_PKT1_PKT2_PT3_21rocsparse_index_base_b, .Lfunc_end47-_ZN9rocsparseL17coomvt_aos_kernelILj1024EiDF16_DF16_ffEEv20rocsparse_operation_lNS_24const_host_device_scalarIT4_EEPKT0_PKT1_PKT2_PT3_21rocsparse_index_base_b
                                        ; -- End function
	.set _ZN9rocsparseL17coomvt_aos_kernelILj1024EiDF16_DF16_ffEEv20rocsparse_operation_lNS_24const_host_device_scalarIT4_EEPKT0_PKT1_PKT2_PT3_21rocsparse_index_base_b.num_vgpr, 4
	.set _ZN9rocsparseL17coomvt_aos_kernelILj1024EiDF16_DF16_ffEEv20rocsparse_operation_lNS_24const_host_device_scalarIT4_EEPKT0_PKT1_PKT2_PT3_21rocsparse_index_base_b.num_agpr, 0
	.set _ZN9rocsparseL17coomvt_aos_kernelILj1024EiDF16_DF16_ffEEv20rocsparse_operation_lNS_24const_host_device_scalarIT4_EEPKT0_PKT1_PKT2_PT3_21rocsparse_index_base_b.numbered_sgpr, 16
	.set _ZN9rocsparseL17coomvt_aos_kernelILj1024EiDF16_DF16_ffEEv20rocsparse_operation_lNS_24const_host_device_scalarIT4_EEPKT0_PKT1_PKT2_PT3_21rocsparse_index_base_b.num_named_barrier, 0
	.set _ZN9rocsparseL17coomvt_aos_kernelILj1024EiDF16_DF16_ffEEv20rocsparse_operation_lNS_24const_host_device_scalarIT4_EEPKT0_PKT1_PKT2_PT3_21rocsparse_index_base_b.private_seg_size, 0
	.set _ZN9rocsparseL17coomvt_aos_kernelILj1024EiDF16_DF16_ffEEv20rocsparse_operation_lNS_24const_host_device_scalarIT4_EEPKT0_PKT1_PKT2_PT3_21rocsparse_index_base_b.uses_vcc, 1
	.set _ZN9rocsparseL17coomvt_aos_kernelILj1024EiDF16_DF16_ffEEv20rocsparse_operation_lNS_24const_host_device_scalarIT4_EEPKT0_PKT1_PKT2_PT3_21rocsparse_index_base_b.uses_flat_scratch, 0
	.set _ZN9rocsparseL17coomvt_aos_kernelILj1024EiDF16_DF16_ffEEv20rocsparse_operation_lNS_24const_host_device_scalarIT4_EEPKT0_PKT1_PKT2_PT3_21rocsparse_index_base_b.has_dyn_sized_stack, 0
	.set _ZN9rocsparseL17coomvt_aos_kernelILj1024EiDF16_DF16_ffEEv20rocsparse_operation_lNS_24const_host_device_scalarIT4_EEPKT0_PKT1_PKT2_PT3_21rocsparse_index_base_b.has_recursion, 0
	.set _ZN9rocsparseL17coomvt_aos_kernelILj1024EiDF16_DF16_ffEEv20rocsparse_operation_lNS_24const_host_device_scalarIT4_EEPKT0_PKT1_PKT2_PT3_21rocsparse_index_base_b.has_indirect_call, 0
	.section	.AMDGPU.csdata,"",@progbits
; Kernel info:
; codeLenInByte = 276
; TotalNumSgprs: 18
; NumVgprs: 4
; ScratchSize: 0
; MemoryBound: 0
; FloatMode: 240
; IeeeMode: 1
; LDSByteSize: 0 bytes/workgroup (compile time only)
; SGPRBlocks: 0
; VGPRBlocks: 0
; NumSGPRsForWavesPerEU: 18
; NumVGPRsForWavesPerEU: 4
; NamedBarCnt: 0
; Occupancy: 16
; WaveLimiterHint : 1
; COMPUTE_PGM_RSRC2:SCRATCH_EN: 0
; COMPUTE_PGM_RSRC2:USER_SGPR: 2
; COMPUTE_PGM_RSRC2:TRAP_HANDLER: 0
; COMPUTE_PGM_RSRC2:TGID_X_EN: 1
; COMPUTE_PGM_RSRC2:TGID_Y_EN: 0
; COMPUTE_PGM_RSRC2:TGID_Z_EN: 0
; COMPUTE_PGM_RSRC2:TIDIG_COMP_CNT: 0
	.section	.text._ZN9rocsparseL26coomvn_aos_segmented_loopsILj256EiDF16_DF16_ffEEvlT0_NS_24const_host_device_scalarIT4_EEPKS1_PKT1_PKT2_PT3_PS1_PS3_21rocsparse_index_base_b,"axG",@progbits,_ZN9rocsparseL26coomvn_aos_segmented_loopsILj256EiDF16_DF16_ffEEvlT0_NS_24const_host_device_scalarIT4_EEPKS1_PKT1_PKT2_PT3_PS1_PS3_21rocsparse_index_base_b,comdat
	.globl	_ZN9rocsparseL26coomvn_aos_segmented_loopsILj256EiDF16_DF16_ffEEvlT0_NS_24const_host_device_scalarIT4_EEPKS1_PKT1_PKT2_PT3_PS1_PS3_21rocsparse_index_base_b ; -- Begin function _ZN9rocsparseL26coomvn_aos_segmented_loopsILj256EiDF16_DF16_ffEEvlT0_NS_24const_host_device_scalarIT4_EEPKS1_PKT1_PKT2_PT3_PS1_PS3_21rocsparse_index_base_b
	.p2align	8
	.type	_ZN9rocsparseL26coomvn_aos_segmented_loopsILj256EiDF16_DF16_ffEEvlT0_NS_24const_host_device_scalarIT4_EEPKS1_PKT1_PKT2_PT3_PS1_PS3_21rocsparse_index_base_b,@function
_ZN9rocsparseL26coomvn_aos_segmented_loopsILj256EiDF16_DF16_ffEEvlT0_NS_24const_host_device_scalarIT4_EEPKS1_PKT1_PKT2_PT3_PS1_PS3_21rocsparse_index_base_b: ; @_ZN9rocsparseL26coomvn_aos_segmented_loopsILj256EiDF16_DF16_ffEEvlT0_NS_24const_host_device_scalarIT4_EEPKS1_PKT1_PKT2_PT3_PS1_PS3_21rocsparse_index_base_b
; %bb.0:
	s_clause 0x1
	s_load_b64 s[22:23], s[0:1], 0x48
	s_load_b64 s[20:21], s[0:1], 0x10
	s_wait_kmcnt 0x0
	s_bitcmp1_b32 s23, 0
	s_cselect_b32 s2, -1, 0
	s_delay_alu instid0(SALU_CYCLE_1)
	s_and_b32 vcc_lo, exec_lo, s2
	s_cbranch_vccnz .LBB48_2
; %bb.1:
	s_load_b32 s20, s[20:21], 0x0
.LBB48_2:
	s_wait_kmcnt 0x0
	s_cmp_eq_f32 s20, 0
	s_cbranch_scc1 .LBB48_89
; %bb.3:
	s_clause 0x1
	s_load_b96 s[16:18], s[0:1], 0x0
	s_load_b128 s[4:7], s[0:1], 0x18
	s_bfe_u32 s2, ttmp6, 0x4000c
	s_load_b64 s[26:27], s[0:1], 0x28
	s_add_co_i32 s2, s2, 1
	s_and_b32 s3, ttmp6, 15
	s_mul_i32 s2, ttmp9, s2
	s_getreg_b32 s8, hwreg(HW_REG_IB_STS2, 6, 4)
	s_add_co_i32 s3, s3, s2
	s_cmp_eq_u32 s8, 0
	v_dual_mov_b32 v3, 0 :: v_dual_mov_b32 v8, -1
	s_cselect_b32 s19, ttmp9, s3
	s_delay_alu instid0(VALU_DEP_1) | instskip(SKIP_2) | instid1(SALU_CYCLE_1)
	v_mov_b32_e32 v11, v3
	s_wait_kmcnt 0x0
	s_mul_i32 s2, s19, s18
	v_lshl_or_b32 v2, s2, 8, v0
	s_mov_b32 s2, exec_lo
	s_delay_alu instid0(VALU_DEP_1)
	v_lshl_add_u64 v[4:5], v[2:3], 3, s[4:5]
	v_lshl_add_u64 v[6:7], v[2:3], 1, s[6:7]
	v_cmpx_gt_i64_e64 s[16:17], v[2:3]
	s_cbranch_execz .LBB48_5
; %bb.4:
	global_load_b64 v[8:9], v[4:5], off th:TH_LOAD_NT
	s_ashr_i32 s23, s22, 31
	s_delay_alu instid0(SALU_CYCLE_1) | instskip(SKIP_3) | instid1(VALU_DEP_2)
	s_lshl_b64 s[4:5], s[22:23], 1
	s_wait_loadcnt 0x0
	v_dual_mov_b32 v10, v9 :: v_dual_ashrrev_i32 v11, 31, v9
	v_subrev_nc_u32_e32 v8, s22, v8
	v_lshl_add_u64 v[10:11], v[10:11], 1, s[26:27]
	s_delay_alu instid0(VALU_DEP_1)
	v_sub_nc_u64_e64 v[10:11], v[10:11], s[4:5]
	global_load_u16 v1, v[6:7], off
	global_load_u16 v9, v[10:11], off
	s_wait_loadcnt 0x1
	v_cvt_f32_f16_e32 v1, v1
	s_wait_loadcnt 0x0
	v_cvt_f32_f16_e32 v9, v9
	s_delay_alu instid0(VALU_DEP_1)
	v_mul_f32_e32 v11, v1, v9
.LBB48_5:
	s_or_b32 exec_lo, exec_lo, s2
	v_lshlrev_b32_e32 v1, 2, v0
	v_cmp_eq_u32_e64 s2, 0, v0
	v_cmp_ne_u32_e64 s3, 0, v0
	s_delay_alu instid0(VALU_DEP_3)
	v_or_b32_e32 v9, 0x400, v1
	v_add_nc_u32_e32 v10, -4, v1
	ds_store_2addr_stride64_b32 v1, v8, v11 offset1:4
	s_wait_dscnt 0x0
	s_barrier_signal -1
	s_barrier_wait -1
	s_and_saveexec_b32 s4, s3
	s_cbranch_execz .LBB48_9
; %bb.6:
	ds_load_b32 v12, v10
	s_mov_b32 s5, exec_lo
	s_wait_dscnt 0x0
	v_cmpx_eq_u32_e64 v8, v12
	s_cbranch_execz .LBB48_8
; %bb.7:
	v_add_nc_u32_e32 v12, -4, v9
	ds_load_b32 v12, v12
	s_wait_dscnt 0x0
	v_add_f32_e32 v11, v11, v12
.LBB48_8:
	s_or_b32 exec_lo, exec_lo, s5
.LBB48_9:
	s_delay_alu instid0(SALU_CYCLE_1)
	s_or_b32 exec_lo, exec_lo, s4
	v_cmp_lt_u32_e64 s4, 1, v0
	v_add_nc_u32_e32 v12, -8, v1
	s_barrier_signal -1
	s_barrier_wait -1
	ds_store_b32 v9, v11
	s_wait_dscnt 0x0
	s_barrier_signal -1
	s_barrier_wait -1
	s_and_saveexec_b32 s5, s4
	s_cbranch_execz .LBB48_13
; %bb.10:
	ds_load_b32 v13, v12
	s_mov_b32 s6, exec_lo
	s_wait_dscnt 0x0
	v_cmpx_eq_u32_e64 v8, v13
	s_cbranch_execz .LBB48_12
; %bb.11:
	v_add_nc_u32_e32 v13, -8, v9
	ds_load_b32 v13, v13
	s_wait_dscnt 0x0
	v_add_f32_e32 v11, v11, v13
.LBB48_12:
	s_or_b32 exec_lo, exec_lo, s6
.LBB48_13:
	s_delay_alu instid0(SALU_CYCLE_1)
	s_or_b32 exec_lo, exec_lo, s5
	v_cmp_lt_u32_e64 s5, 3, v0
	v_add_nc_u32_e32 v13, -16, v1
	s_barrier_signal -1
	s_barrier_wait -1
	ds_store_b32 v9, v11
	s_wait_dscnt 0x0
	s_barrier_signal -1
	s_barrier_wait -1
	s_and_saveexec_b32 s6, s5
	s_cbranch_execz .LBB48_17
; %bb.14:
	ds_load_b32 v14, v13
	s_mov_b32 s7, exec_lo
	s_wait_dscnt 0x0
	v_cmpx_eq_u32_e64 v8, v14
	s_cbranch_execz .LBB48_16
; %bb.15:
	v_add_nc_u32_e32 v14, -16, v9
	ds_load_b32 v14, v14
	s_wait_dscnt 0x0
	v_add_f32_e32 v11, v11, v14
.LBB48_16:
	s_or_b32 exec_lo, exec_lo, s7
.LBB48_17:
	s_delay_alu instid0(SALU_CYCLE_1)
	s_or_b32 exec_lo, exec_lo, s6
	v_cmp_lt_u32_e64 s6, 7, v0
	v_subrev_nc_u32_e32 v14, 32, v1
	s_barrier_signal -1
	s_barrier_wait -1
	ds_store_b32 v9, v11
	s_wait_dscnt 0x0
	s_barrier_signal -1
	s_barrier_wait -1
	s_and_saveexec_b32 s7, s6
	s_cbranch_execz .LBB48_21
; %bb.18:
	ds_load_b32 v15, v14
	s_mov_b32 s8, exec_lo
	s_wait_dscnt 0x0
	v_cmpx_eq_u32_e64 v8, v15
	s_cbranch_execz .LBB48_20
; %bb.19:
	v_subrev_nc_u32_e32 v15, 32, v9
	ds_load_b32 v15, v15
	s_wait_dscnt 0x0
	v_add_f32_e32 v11, v11, v15
.LBB48_20:
	s_or_b32 exec_lo, exec_lo, s8
.LBB48_21:
	s_delay_alu instid0(SALU_CYCLE_1)
	s_or_b32 exec_lo, exec_lo, s7
	v_cmp_lt_u32_e64 s7, 15, v0
	v_subrev_nc_u32_e32 v15, 64, v1
	s_barrier_signal -1
	s_barrier_wait -1
	ds_store_b32 v9, v11
	s_wait_dscnt 0x0
	s_barrier_signal -1
	s_barrier_wait -1
	s_and_saveexec_b32 s8, s7
	s_cbranch_execz .LBB48_25
; %bb.22:
	ds_load_b32 v16, v15
	s_mov_b32 s9, exec_lo
	s_wait_dscnt 0x0
	v_cmpx_eq_u32_e64 v8, v16
	s_cbranch_execz .LBB48_24
; %bb.23:
	v_subrev_nc_u32_e32 v16, 64, v9
	ds_load_b32 v16, v16
	s_wait_dscnt 0x0
	v_add_f32_e32 v11, v11, v16
.LBB48_24:
	s_or_b32 exec_lo, exec_lo, s9
.LBB48_25:
	s_delay_alu instid0(SALU_CYCLE_1)
	s_or_b32 exec_lo, exec_lo, s8
	v_cmp_lt_u32_e64 s8, 31, v0
	v_add_nc_u32_e32 v16, 0xffffff80, v1
	s_barrier_signal -1
	s_barrier_wait -1
	ds_store_b32 v9, v11
	s_wait_dscnt 0x0
	s_barrier_signal -1
	s_barrier_wait -1
	s_and_saveexec_b32 s9, s8
	s_cbranch_execz .LBB48_29
; %bb.26:
	ds_load_b32 v17, v16
	s_mov_b32 s10, exec_lo
	s_wait_dscnt 0x0
	v_cmpx_eq_u32_e64 v8, v17
	s_cbranch_execz .LBB48_28
; %bb.27:
	v_add_nc_u32_e32 v17, 0xffffff80, v9
	ds_load_b32 v17, v17
	s_wait_dscnt 0x0
	v_add_f32_e32 v11, v11, v17
.LBB48_28:
	s_or_b32 exec_lo, exec_lo, s10
.LBB48_29:
	s_delay_alu instid0(SALU_CYCLE_1)
	s_or_b32 exec_lo, exec_lo, s9
	v_cmp_lt_u32_e64 s9, 63, v0
	v_add_nc_u32_e32 v17, 0xffffff00, v1
	s_barrier_signal -1
	s_barrier_wait -1
	ds_store_b32 v9, v11
	s_wait_dscnt 0x0
	s_barrier_signal -1
	s_barrier_wait -1
	s_and_saveexec_b32 s10, s9
	s_cbranch_execz .LBB48_33
; %bb.30:
	ds_load_b32 v18, v17
	s_mov_b32 s11, exec_lo
	s_wait_dscnt 0x0
	v_cmpx_eq_u32_e64 v8, v18
	s_cbranch_execz .LBB48_32
; %bb.31:
	v_add_nc_u32_e32 v18, 0xffffff00, v9
	ds_load_b32 v18, v18
	s_wait_dscnt 0x0
	v_add_f32_e32 v11, v11, v18
.LBB48_32:
	s_or_b32 exec_lo, exec_lo, s11
.LBB48_33:
	s_delay_alu instid0(SALU_CYCLE_1)
	s_or_b32 exec_lo, exec_lo, s10
	s_load_b64 s[24:25], s[0:1], 0x30
	v_cmp_lt_u32_e64 s10, 0x7f, v0
	v_add_nc_u32_e32 v18, 0xfffffe00, v1
	s_barrier_signal -1
	s_barrier_wait -1
	ds_store_b32 v9, v11
	s_wait_dscnt 0x0
	s_barrier_signal -1
	s_barrier_wait -1
	s_and_saveexec_b32 s11, s10
	s_cbranch_execz .LBB48_37
; %bb.34:
	ds_load_b32 v19, v18
	s_mov_b32 s12, exec_lo
	s_wait_dscnt 0x0
	v_cmpx_eq_u32_e64 v8, v19
	s_cbranch_execz .LBB48_36
; %bb.35:
	v_add_nc_u32_e32 v19, 0xfffffe00, v9
	ds_load_b32 v19, v19
	s_wait_dscnt 0x0
	v_add_f32_e32 v11, v11, v19
.LBB48_36:
	s_or_b32 exec_lo, exec_lo, s12
.LBB48_37:
	s_delay_alu instid0(SALU_CYCLE_1)
	s_or_b32 exec_lo, exec_lo, s11
	v_cmp_gt_u32_e64 s11, 0xff, v0
	s_barrier_signal -1
	s_barrier_wait -1
	ds_store_b32 v9, v11
	s_wait_dscnt 0x0
	s_barrier_signal -1
	s_barrier_wait -1
	s_and_saveexec_b32 s13, s11
	s_cbranch_execz .LBB48_40
; %bb.38:
	ds_load_b32 v19, v1 offset:4
	v_cmp_lt_i32_e64 s12, -1, v8
	s_wait_dscnt 0x0
	v_cmp_ne_u32_e32 vcc_lo, v8, v19
	s_and_b32 s12, s12, vcc_lo
	s_delay_alu instid0(SALU_CYCLE_1)
	s_and_b32 exec_lo, exec_lo, s12
	s_cbranch_execz .LBB48_40
; %bb.39:
	s_wait_kmcnt 0x0
	global_load_b32 v19, v8, s[24:25] scale_offset
	s_wait_loadcnt 0x0
	v_fmac_f32_e32 v19, s20, v11
	global_store_b32 v8, v19, s[24:25] scale_offset
.LBB48_40:
	s_wait_xcnt 0x0
	s_or_b32 exec_lo, exec_lo, s13
	s_load_b128 s[12:15], s[0:1], 0x38
	s_cmp_lt_i32 s18, 2
	s_cbranch_scc1 .LBB48_87
; %bb.41:
	v_add_nc_u64_e32 v[6:7], 0x200, v[6:7]
	v_add_nc_u64_e32 v[4:5], 0x800, v[4:5]
	;; [unrolled: 1-line block ×3, first 2 shown]
	s_ashr_i32 s23, s22, 31
	v_dual_add_nc_u32 v19, -4, v9 :: v_dual_add_nc_u32 v20, -8, v9
	v_dual_add_nc_u32 v21, -16, v9 :: v_dual_mov_b32 v27, 0
	v_subrev_nc_u32_e32 v22, 32, v9
	v_subrev_nc_u32_e32 v23, 64, v9
	v_add_nc_u32_e32 v24, 0xffffff80, v9
	v_add_nc_u32_e32 v25, 0xffffff00, v9
	v_add_nc_u32_e32 v26, 0xfffffe00, v9
	s_wait_xcnt 0x0
	s_lshl_b64 s[0:1], s[22:23], 1
	s_delay_alu instid0(SALU_CYCLE_1)
	s_sub_nc_u64 s[26:27], s[26:27], s[0:1]
	s_add_co_i32 s1, s18, -1
	s_branch .LBB48_43
.LBB48_42:                              ;   in Loop: Header=BB48_43 Depth=1
	s_wait_xcnt 0x0
	s_or_b32 exec_lo, exec_lo, s18
	v_add_nc_u64_e32 v[6:7], 0x200, v[6:7]
	v_add_nc_u64_e32 v[4:5], 0x800, v[4:5]
	;; [unrolled: 1-line block ×3, first 2 shown]
	s_add_co_i32 s1, s1, -1
	s_delay_alu instid0(SALU_CYCLE_1)
	s_cmp_eq_u32 s1, 0
	s_cbranch_scc1 .LBB48_87
.LBB48_43:                              ; =>This Inner Loop Header: Depth=1
	v_dual_mov_b32 v8, -1 :: v_dual_mov_b32 v11, 0
	s_mov_b32 s0, exec_lo
	s_delay_alu instid0(VALU_DEP_2)
	v_cmpx_gt_i64_e64 s[16:17], v[2:3]
	s_cbranch_execz .LBB48_45
; %bb.44:                               ;   in Loop: Header=BB48_43 Depth=1
	global_load_b64 v[28:29], v[4:5], off th:TH_LOAD_NT
	global_load_u16 v8, v[6:7], off
	s_wait_loadcnt 0x1
	global_load_u16 v11, v29, s[26:27] scale_offset
	s_wait_loadcnt 0x1
	s_wait_xcnt 0x0
	v_cvt_f32_f16_e32 v29, v8
	v_subrev_nc_u32_e32 v8, s22, v28
	s_wait_loadcnt 0x0
	v_cvt_f32_f16_e32 v11, v11
	s_delay_alu instid0(VALU_DEP_1)
	v_mul_f32_e32 v11, v29, v11
.LBB48_45:                              ;   in Loop: Header=BB48_43 Depth=1
	s_or_b32 exec_lo, exec_lo, s0
	s_and_saveexec_b32 s0, s2
	s_cbranch_execz .LBB48_52
; %bb.46:                               ;   in Loop: Header=BB48_43 Depth=1
	ds_load_b32 v28, v27 offset:1020
	s_mov_b32 s18, exec_lo
	s_wait_dscnt 0x0
	v_cmpx_ne_u32_e64 v8, v28
	s_xor_b32 s18, exec_lo, s18
	s_cbranch_execz .LBB48_49
; %bb.47:                               ;   in Loop: Header=BB48_43 Depth=1
	v_cmp_gt_i32_e32 vcc_lo, 0, v28
	s_cbranch_vccnz .LBB48_49
; %bb.48:                               ;   in Loop: Header=BB48_43 Depth=1
	s_wait_kmcnt 0x0
	global_load_b32 v29, v28, s[24:25] scale_offset
	ds_load_b32 v30, v27 offset:2044
	s_wait_loadcnt_dscnt 0x0
	v_fmac_f32_e32 v29, s20, v30
	global_store_b32 v28, v29, s[24:25] scale_offset
.LBB48_49:                              ;   in Loop: Header=BB48_43 Depth=1
	s_wait_xcnt 0x0
	s_and_not1_saveexec_b32 s18, s18
	s_cbranch_execz .LBB48_51
; %bb.50:                               ;   in Loop: Header=BB48_43 Depth=1
	ds_load_b32 v28, v27 offset:2044
	s_wait_dscnt 0x0
	v_add_f32_e32 v11, v11, v28
.LBB48_51:                              ;   in Loop: Header=BB48_43 Depth=1
	s_or_b32 exec_lo, exec_lo, s18
.LBB48_52:                              ;   in Loop: Header=BB48_43 Depth=1
	s_delay_alu instid0(SALU_CYCLE_1)
	s_or_b32 exec_lo, exec_lo, s0
	s_wait_storecnt 0x0
	s_barrier_signal -1
	s_barrier_wait -1
	ds_store_b32 v1, v8
	ds_store_b32 v9, v11
	s_wait_dscnt 0x0
	s_barrier_signal -1
	s_barrier_wait -1
	s_and_saveexec_b32 s0, s3
	s_cbranch_execz .LBB48_56
; %bb.53:                               ;   in Loop: Header=BB48_43 Depth=1
	ds_load_b32 v28, v10
	s_mov_b32 s18, exec_lo
	s_wait_dscnt 0x0
	v_cmpx_eq_u32_e64 v8, v28
	s_cbranch_execz .LBB48_55
; %bb.54:                               ;   in Loop: Header=BB48_43 Depth=1
	ds_load_b32 v28, v19
	s_wait_dscnt 0x0
	v_add_f32_e32 v11, v11, v28
.LBB48_55:                              ;   in Loop: Header=BB48_43 Depth=1
	s_or_b32 exec_lo, exec_lo, s18
.LBB48_56:                              ;   in Loop: Header=BB48_43 Depth=1
	s_delay_alu instid0(SALU_CYCLE_1)
	s_or_b32 exec_lo, exec_lo, s0
	s_barrier_signal -1
	s_barrier_wait -1
	ds_store_b32 v9, v11
	s_wait_dscnt 0x0
	s_barrier_signal -1
	s_barrier_wait -1
	s_and_saveexec_b32 s0, s4
	s_cbranch_execz .LBB48_60
; %bb.57:                               ;   in Loop: Header=BB48_43 Depth=1
	ds_load_b32 v28, v12
	s_mov_b32 s18, exec_lo
	s_wait_dscnt 0x0
	v_cmpx_eq_u32_e64 v8, v28
	s_cbranch_execz .LBB48_59
; %bb.58:                               ;   in Loop: Header=BB48_43 Depth=1
	ds_load_b32 v28, v20
	s_wait_dscnt 0x0
	v_add_f32_e32 v11, v11, v28
.LBB48_59:                              ;   in Loop: Header=BB48_43 Depth=1
	s_or_b32 exec_lo, exec_lo, s18
.LBB48_60:                              ;   in Loop: Header=BB48_43 Depth=1
	s_delay_alu instid0(SALU_CYCLE_1)
	s_or_b32 exec_lo, exec_lo, s0
	s_barrier_signal -1
	s_barrier_wait -1
	;; [unrolled: 23-line block ×8, first 2 shown]
	ds_store_b32 v9, v11
	s_wait_dscnt 0x0
	s_barrier_signal -1
	s_barrier_wait -1
	s_and_saveexec_b32 s18, s11
	s_cbranch_execz .LBB48_42
; %bb.85:                               ;   in Loop: Header=BB48_43 Depth=1
	ds_load_b32 v28, v1 offset:4
	v_cmp_lt_i32_e64 s0, -1, v8
	s_wait_dscnt 0x0
	v_cmp_ne_u32_e32 vcc_lo, v8, v28
	s_and_b32 s0, s0, vcc_lo
	s_delay_alu instid0(SALU_CYCLE_1)
	s_and_b32 exec_lo, exec_lo, s0
	s_cbranch_execz .LBB48_42
; %bb.86:                               ;   in Loop: Header=BB48_43 Depth=1
	s_wait_kmcnt 0x0
	global_load_b32 v28, v8, s[24:25] scale_offset
	s_wait_loadcnt 0x0
	v_fmac_f32_e32 v28, s20, v11
	global_store_b32 v8, v28, s[24:25] scale_offset
	s_branch .LBB48_42
.LBB48_87:
	s_wait_xcnt 0x0
	s_mov_b32 s0, exec_lo
	v_cmpx_eq_u32_e32 0xff, v0
	s_cbranch_execz .LBB48_89
; %bb.88:
	v_dual_mov_b32 v0, s19 :: v_dual_mul_f32 v1, s20, v11
	s_wait_kmcnt 0x0
	s_clause 0x1
	global_store_b32 v0, v8, s[12:13] scale_offset th:TH_STORE_NT
	global_store_b32 v0, v1, s[14:15] scale_offset th:TH_STORE_NT
.LBB48_89:
	s_endpgm
	.section	.rodata,"a",@progbits
	.p2align	6, 0x0
	.amdhsa_kernel _ZN9rocsparseL26coomvn_aos_segmented_loopsILj256EiDF16_DF16_ffEEvlT0_NS_24const_host_device_scalarIT4_EEPKS1_PKT1_PKT2_PT3_PS1_PS3_21rocsparse_index_base_b
		.amdhsa_group_segment_fixed_size 2048
		.amdhsa_private_segment_fixed_size 0
		.amdhsa_kernarg_size 80
		.amdhsa_user_sgpr_count 2
		.amdhsa_user_sgpr_dispatch_ptr 0
		.amdhsa_user_sgpr_queue_ptr 0
		.amdhsa_user_sgpr_kernarg_segment_ptr 1
		.amdhsa_user_sgpr_dispatch_id 0
		.amdhsa_user_sgpr_kernarg_preload_length 0
		.amdhsa_user_sgpr_kernarg_preload_offset 0
		.amdhsa_user_sgpr_private_segment_size 0
		.amdhsa_wavefront_size32 1
		.amdhsa_uses_dynamic_stack 0
		.amdhsa_enable_private_segment 0
		.amdhsa_system_sgpr_workgroup_id_x 1
		.amdhsa_system_sgpr_workgroup_id_y 0
		.amdhsa_system_sgpr_workgroup_id_z 0
		.amdhsa_system_sgpr_workgroup_info 0
		.amdhsa_system_vgpr_workitem_id 0
		.amdhsa_next_free_vgpr 31
		.amdhsa_next_free_sgpr 28
		.amdhsa_named_barrier_count 0
		.amdhsa_reserve_vcc 1
		.amdhsa_float_round_mode_32 0
		.amdhsa_float_round_mode_16_64 0
		.amdhsa_float_denorm_mode_32 3
		.amdhsa_float_denorm_mode_16_64 3
		.amdhsa_fp16_overflow 0
		.amdhsa_memory_ordered 1
		.amdhsa_forward_progress 1
		.amdhsa_inst_pref_size 22
		.amdhsa_round_robin_scheduling 0
		.amdhsa_exception_fp_ieee_invalid_op 0
		.amdhsa_exception_fp_denorm_src 0
		.amdhsa_exception_fp_ieee_div_zero 0
		.amdhsa_exception_fp_ieee_overflow 0
		.amdhsa_exception_fp_ieee_underflow 0
		.amdhsa_exception_fp_ieee_inexact 0
		.amdhsa_exception_int_div_zero 0
	.end_amdhsa_kernel
	.section	.text._ZN9rocsparseL26coomvn_aos_segmented_loopsILj256EiDF16_DF16_ffEEvlT0_NS_24const_host_device_scalarIT4_EEPKS1_PKT1_PKT2_PT3_PS1_PS3_21rocsparse_index_base_b,"axG",@progbits,_ZN9rocsparseL26coomvn_aos_segmented_loopsILj256EiDF16_DF16_ffEEvlT0_NS_24const_host_device_scalarIT4_EEPKS1_PKT1_PKT2_PT3_PS1_PS3_21rocsparse_index_base_b,comdat
.Lfunc_end48:
	.size	_ZN9rocsparseL26coomvn_aos_segmented_loopsILj256EiDF16_DF16_ffEEvlT0_NS_24const_host_device_scalarIT4_EEPKS1_PKT1_PKT2_PT3_PS1_PS3_21rocsparse_index_base_b, .Lfunc_end48-_ZN9rocsparseL26coomvn_aos_segmented_loopsILj256EiDF16_DF16_ffEEvlT0_NS_24const_host_device_scalarIT4_EEPKS1_PKT1_PKT2_PT3_PS1_PS3_21rocsparse_index_base_b
                                        ; -- End function
	.set _ZN9rocsparseL26coomvn_aos_segmented_loopsILj256EiDF16_DF16_ffEEvlT0_NS_24const_host_device_scalarIT4_EEPKS1_PKT1_PKT2_PT3_PS1_PS3_21rocsparse_index_base_b.num_vgpr, 31
	.set _ZN9rocsparseL26coomvn_aos_segmented_loopsILj256EiDF16_DF16_ffEEvlT0_NS_24const_host_device_scalarIT4_EEPKS1_PKT1_PKT2_PT3_PS1_PS3_21rocsparse_index_base_b.num_agpr, 0
	.set _ZN9rocsparseL26coomvn_aos_segmented_loopsILj256EiDF16_DF16_ffEEvlT0_NS_24const_host_device_scalarIT4_EEPKS1_PKT1_PKT2_PT3_PS1_PS3_21rocsparse_index_base_b.numbered_sgpr, 28
	.set _ZN9rocsparseL26coomvn_aos_segmented_loopsILj256EiDF16_DF16_ffEEvlT0_NS_24const_host_device_scalarIT4_EEPKS1_PKT1_PKT2_PT3_PS1_PS3_21rocsparse_index_base_b.num_named_barrier, 0
	.set _ZN9rocsparseL26coomvn_aos_segmented_loopsILj256EiDF16_DF16_ffEEvlT0_NS_24const_host_device_scalarIT4_EEPKS1_PKT1_PKT2_PT3_PS1_PS3_21rocsparse_index_base_b.private_seg_size, 0
	.set _ZN9rocsparseL26coomvn_aos_segmented_loopsILj256EiDF16_DF16_ffEEvlT0_NS_24const_host_device_scalarIT4_EEPKS1_PKT1_PKT2_PT3_PS1_PS3_21rocsparse_index_base_b.uses_vcc, 1
	.set _ZN9rocsparseL26coomvn_aos_segmented_loopsILj256EiDF16_DF16_ffEEvlT0_NS_24const_host_device_scalarIT4_EEPKS1_PKT1_PKT2_PT3_PS1_PS3_21rocsparse_index_base_b.uses_flat_scratch, 0
	.set _ZN9rocsparseL26coomvn_aos_segmented_loopsILj256EiDF16_DF16_ffEEvlT0_NS_24const_host_device_scalarIT4_EEPKS1_PKT1_PKT2_PT3_PS1_PS3_21rocsparse_index_base_b.has_dyn_sized_stack, 0
	.set _ZN9rocsparseL26coomvn_aos_segmented_loopsILj256EiDF16_DF16_ffEEvlT0_NS_24const_host_device_scalarIT4_EEPKS1_PKT1_PKT2_PT3_PS1_PS3_21rocsparse_index_base_b.has_recursion, 0
	.set _ZN9rocsparseL26coomvn_aos_segmented_loopsILj256EiDF16_DF16_ffEEvlT0_NS_24const_host_device_scalarIT4_EEPKS1_PKT1_PKT2_PT3_PS1_PS3_21rocsparse_index_base_b.has_indirect_call, 0
	.section	.AMDGPU.csdata,"",@progbits
; Kernel info:
; codeLenInByte = 2692
; TotalNumSgprs: 30
; NumVgprs: 31
; ScratchSize: 0
; MemoryBound: 0
; FloatMode: 240
; IeeeMode: 1
; LDSByteSize: 2048 bytes/workgroup (compile time only)
; SGPRBlocks: 0
; VGPRBlocks: 1
; NumSGPRsForWavesPerEU: 30
; NumVGPRsForWavesPerEU: 31
; NamedBarCnt: 0
; Occupancy: 16
; WaveLimiterHint : 1
; COMPUTE_PGM_RSRC2:SCRATCH_EN: 0
; COMPUTE_PGM_RSRC2:USER_SGPR: 2
; COMPUTE_PGM_RSRC2:TRAP_HANDLER: 0
; COMPUTE_PGM_RSRC2:TGID_X_EN: 1
; COMPUTE_PGM_RSRC2:TGID_Y_EN: 0
; COMPUTE_PGM_RSRC2:TGID_Z_EN: 0
; COMPUTE_PGM_RSRC2:TIDIG_COMP_CNT: 0
	.section	.text._ZN9rocsparseL23coomvn_aos_atomic_loopsILj256ELj1ElDF16_DF16_ffEEvlNS_24const_host_device_scalarIT5_EEPKT1_PKT2_PKT3_PT4_21rocsparse_index_base_b,"axG",@progbits,_ZN9rocsparseL23coomvn_aos_atomic_loopsILj256ELj1ElDF16_DF16_ffEEvlNS_24const_host_device_scalarIT5_EEPKT1_PKT2_PKT3_PT4_21rocsparse_index_base_b,comdat
	.globl	_ZN9rocsparseL23coomvn_aos_atomic_loopsILj256ELj1ElDF16_DF16_ffEEvlNS_24const_host_device_scalarIT5_EEPKT1_PKT2_PKT3_PT4_21rocsparse_index_base_b ; -- Begin function _ZN9rocsparseL23coomvn_aos_atomic_loopsILj256ELj1ElDF16_DF16_ffEEvlNS_24const_host_device_scalarIT5_EEPKT1_PKT2_PKT3_PT4_21rocsparse_index_base_b
	.p2align	8
	.type	_ZN9rocsparseL23coomvn_aos_atomic_loopsILj256ELj1ElDF16_DF16_ffEEvlNS_24const_host_device_scalarIT5_EEPKT1_PKT2_PKT3_PT4_21rocsparse_index_base_b,@function
_ZN9rocsparseL23coomvn_aos_atomic_loopsILj256ELj1ElDF16_DF16_ffEEvlNS_24const_host_device_scalarIT5_EEPKT1_PKT2_PKT3_PT4_21rocsparse_index_base_b: ; @_ZN9rocsparseL23coomvn_aos_atomic_loopsILj256ELj1ElDF16_DF16_ffEEvlNS_24const_host_device_scalarIT5_EEPKT1_PKT2_PKT3_PT4_21rocsparse_index_base_b
; %bb.0:
	s_clause 0x1
	s_load_b64 s[2:3], s[0:1], 0x30
	s_load_b128 s[4:7], s[0:1], 0x0
	s_wait_kmcnt 0x0
	s_bitcmp1_b32 s3, 0
	s_cselect_b32 s3, -1, 0
	s_delay_alu instid0(SALU_CYCLE_1)
	s_and_b32 vcc_lo, exec_lo, s3
	s_cbranch_vccnz .LBB49_2
; %bb.1:
	s_load_b32 s6, s[6:7], 0x0
.LBB49_2:
	s_wait_kmcnt 0x0
	s_cmp_eq_f32 s6, 0
	s_cbranch_scc1 .LBB49_42
; %bb.3:
	s_bfe_u32 s3, ttmp6, 0x4000c
	s_and_b32 s7, ttmp6, 15
	s_add_co_i32 s3, s3, 1
	s_getreg_b32 s8, hwreg(HW_REG_IB_STS2, 6, 4)
	s_mul_i32 s3, ttmp9, s3
	v_mov_b32_e32 v3, 0
	s_add_co_i32 s7, s7, s3
	s_cmp_eq_u32 s8, 0
	v_mov_b64_e32 v[4:5], -1
	s_cselect_b32 s3, ttmp9, s7
	s_delay_alu instid0(SALU_CYCLE_1) | instskip(NEXT) | instid1(VALU_DEP_1)
	v_lshl_or_b32 v2, s3, 8, v0
	v_cmp_gt_i64_e32 vcc_lo, s[4:5], v[2:3]
	s_and_saveexec_b32 s4, vcc_lo
	s_cbranch_execz .LBB49_5
; %bb.4:
	s_clause 0x1
	s_load_b128 s[8:11], s[0:1], 0x10
	s_load_b64 s[12:13], s[0:1], 0x20
	s_mov_b32 s3, 0
	s_wait_kmcnt 0x0
	v_lshl_add_u64 v[4:5], v[2:3], 4, s[8:9]
	v_lshl_add_u64 v[2:3], v[2:3], 1, s[10:11]
	global_load_b128 v[4:7], v[4:5], off th:TH_LOAD_NT
	s_wait_loadcnt 0x0
	v_sub_nc_u64_e64 v[6:7], v[6:7], s[2:3]
	v_sub_nc_u64_e64 v[4:5], v[4:5], s[2:3]
	s_delay_alu instid0(VALU_DEP_2)
	v_lshl_add_u64 v[6:7], v[6:7], 1, s[12:13]
	global_load_u16 v1, v[2:3], off
	global_load_u16 v8, v[6:7], off
	s_wait_loadcnt 0x1
	v_cvt_f32_f16_e32 v1, v1
	s_wait_loadcnt 0x0
	v_cvt_f32_f16_e32 v2, v8
	s_delay_alu instid0(VALU_DEP_1)
	v_mul_f32_e32 v3, v1, v2
.LBB49_5:
	s_or_b32 exec_lo, exec_lo, s4
	v_dual_lshlrev_b32 v6, 2, v0 :: v_dual_lshlrev_b32 v1, 3, v0
	s_mov_b32 s2, exec_lo
	ds_store_b64 v1, v[4:5]
	ds_store_b32 v6, v3 offset:2048
	v_or_b32_e32 v2, 0x800, v6
	s_wait_dscnt 0x0
	s_barrier_signal -1
	s_barrier_wait -1
	v_cmpx_ne_u32_e32 0, v0
	s_cbranch_execz .LBB49_9
; %bb.6:
	v_add_nc_u32_e32 v6, -8, v1
	s_mov_b32 s3, exec_lo
	ds_load_b64 v[6:7], v6
	s_wait_dscnt 0x0
	v_cmpx_eq_u64_e64 v[4:5], v[6:7]
	s_cbranch_execz .LBB49_8
; %bb.7:
	v_add_nc_u32_e32 v6, -4, v2
	ds_load_b32 v6, v6
	s_wait_dscnt 0x0
	v_add_f32_e32 v3, v3, v6
.LBB49_8:
	s_or_b32 exec_lo, exec_lo, s3
.LBB49_9:
	s_delay_alu instid0(SALU_CYCLE_1) | instskip(NEXT) | instid1(SALU_CYCLE_1)
	s_or_b32 exec_lo, exec_lo, s2
	s_mov_b32 s2, exec_lo
	s_barrier_signal -1
	s_barrier_wait -1
	ds_store_b32 v2, v3
	s_wait_dscnt 0x0
	s_barrier_signal -1
	s_barrier_wait -1
	v_cmpx_lt_u32_e32 1, v0
	s_cbranch_execz .LBB49_13
; %bb.10:
	v_add_nc_u32_e32 v6, -16, v1
	s_mov_b32 s3, exec_lo
	ds_load_b64 v[6:7], v6
	s_wait_dscnt 0x0
	v_cmpx_eq_u64_e64 v[4:5], v[6:7]
	s_cbranch_execz .LBB49_12
; %bb.11:
	v_add_nc_u32_e32 v6, -8, v2
	ds_load_b32 v6, v6
	s_wait_dscnt 0x0
	v_add_f32_e32 v3, v3, v6
.LBB49_12:
	s_or_b32 exec_lo, exec_lo, s3
.LBB49_13:
	s_delay_alu instid0(SALU_CYCLE_1) | instskip(NEXT) | instid1(SALU_CYCLE_1)
	s_or_b32 exec_lo, exec_lo, s2
	s_mov_b32 s2, exec_lo
	s_barrier_signal -1
	s_barrier_wait -1
	ds_store_b32 v2, v3
	s_wait_dscnt 0x0
	s_barrier_signal -1
	s_barrier_wait -1
	v_cmpx_lt_u32_e32 3, v0
	s_cbranch_execz .LBB49_17
; %bb.14:
	v_subrev_nc_u32_e32 v6, 32, v1
	s_mov_b32 s3, exec_lo
	ds_load_b64 v[6:7], v6
	s_wait_dscnt 0x0
	v_cmpx_eq_u64_e64 v[4:5], v[6:7]
	s_cbranch_execz .LBB49_16
; %bb.15:
	v_add_nc_u32_e32 v6, -16, v2
	ds_load_b32 v6, v6
	s_wait_dscnt 0x0
	v_add_f32_e32 v3, v3, v6
.LBB49_16:
	s_or_b32 exec_lo, exec_lo, s3
.LBB49_17:
	s_delay_alu instid0(SALU_CYCLE_1) | instskip(NEXT) | instid1(SALU_CYCLE_1)
	s_or_b32 exec_lo, exec_lo, s2
	s_mov_b32 s2, exec_lo
	s_barrier_signal -1
	s_barrier_wait -1
	ds_store_b32 v2, v3
	s_wait_dscnt 0x0
	s_barrier_signal -1
	s_barrier_wait -1
	v_cmpx_lt_u32_e32 7, v0
	s_cbranch_execz .LBB49_21
; %bb.18:
	v_subrev_nc_u32_e32 v6, 64, v1
	s_mov_b32 s3, exec_lo
	ds_load_b64 v[6:7], v6
	s_wait_dscnt 0x0
	v_cmpx_eq_u64_e64 v[4:5], v[6:7]
	s_cbranch_execz .LBB49_20
; %bb.19:
	v_subrev_nc_u32_e32 v6, 32, v2
	ds_load_b32 v6, v6
	s_wait_dscnt 0x0
	v_add_f32_e32 v3, v3, v6
.LBB49_20:
	s_or_b32 exec_lo, exec_lo, s3
.LBB49_21:
	s_delay_alu instid0(SALU_CYCLE_1) | instskip(NEXT) | instid1(SALU_CYCLE_1)
	s_or_b32 exec_lo, exec_lo, s2
	s_mov_b32 s2, exec_lo
	s_barrier_signal -1
	s_barrier_wait -1
	ds_store_b32 v2, v3
	s_wait_dscnt 0x0
	s_barrier_signal -1
	s_barrier_wait -1
	v_cmpx_lt_u32_e32 15, v0
	s_cbranch_execz .LBB49_25
; %bb.22:
	v_add_nc_u32_e32 v6, 0xffffff80, v1
	s_mov_b32 s3, exec_lo
	ds_load_b64 v[6:7], v6
	s_wait_dscnt 0x0
	v_cmpx_eq_u64_e64 v[4:5], v[6:7]
	s_cbranch_execz .LBB49_24
; %bb.23:
	v_subrev_nc_u32_e32 v6, 64, v2
	ds_load_b32 v6, v6
	s_wait_dscnt 0x0
	v_add_f32_e32 v3, v3, v6
.LBB49_24:
	s_or_b32 exec_lo, exec_lo, s3
.LBB49_25:
	s_delay_alu instid0(SALU_CYCLE_1) | instskip(NEXT) | instid1(SALU_CYCLE_1)
	s_or_b32 exec_lo, exec_lo, s2
	s_mov_b32 s2, exec_lo
	s_barrier_signal -1
	s_barrier_wait -1
	ds_store_b32 v2, v3
	s_wait_dscnt 0x0
	s_barrier_signal -1
	s_barrier_wait -1
	v_cmpx_lt_u32_e32 31, v0
	s_cbranch_execz .LBB49_29
; %bb.26:
	v_add_nc_u32_e32 v6, 0xffffff00, v1
	s_mov_b32 s3, exec_lo
	ds_load_b64 v[6:7], v6
	s_wait_dscnt 0x0
	v_cmpx_eq_u64_e64 v[4:5], v[6:7]
	s_cbranch_execz .LBB49_28
; %bb.27:
	v_add_nc_u32_e32 v6, 0xffffff80, v2
	ds_load_b32 v6, v6
	s_wait_dscnt 0x0
	v_add_f32_e32 v3, v3, v6
.LBB49_28:
	s_or_b32 exec_lo, exec_lo, s3
.LBB49_29:
	s_delay_alu instid0(SALU_CYCLE_1) | instskip(NEXT) | instid1(SALU_CYCLE_1)
	s_or_b32 exec_lo, exec_lo, s2
	s_mov_b32 s2, exec_lo
	s_barrier_signal -1
	s_barrier_wait -1
	ds_store_b32 v2, v3
	s_wait_dscnt 0x0
	s_barrier_signal -1
	s_barrier_wait -1
	v_cmpx_lt_u32_e32 63, v0
	s_cbranch_execz .LBB49_33
; %bb.30:
	v_add_nc_u32_e32 v6, 0xfffffe00, v1
	s_mov_b32 s3, exec_lo
	ds_load_b64 v[6:7], v6
	s_wait_dscnt 0x0
	v_cmpx_eq_u64_e64 v[4:5], v[6:7]
	s_cbranch_execz .LBB49_32
; %bb.31:
	v_add_nc_u32_e32 v6, 0xffffff00, v2
	ds_load_b32 v6, v6
	s_wait_dscnt 0x0
	v_add_f32_e32 v3, v3, v6
.LBB49_32:
	s_or_b32 exec_lo, exec_lo, s3
.LBB49_33:
	;; [unrolled: 26-line block ×3, first 2 shown]
	s_delay_alu instid0(SALU_CYCLE_1)
	s_or_b32 exec_lo, exec_lo, s2
	s_load_b64 s[2:3], s[0:1], 0x28
	s_wait_xcnt 0x0
	s_mov_b32 s1, exec_lo
	s_barrier_signal -1
	s_barrier_wait -1
	ds_store_b32 v2, v3
	s_wait_dscnt 0x0
	s_barrier_signal -1
	s_barrier_wait -1
	v_cmpx_gt_u32_e32 0xff, v0
	s_cbranch_execz .LBB49_40
; %bb.38:
	ds_load_b64 v[6:7], v1 offset:8
	v_cmp_lt_i64_e64 s0, -1, v[4:5]
	s_wait_dscnt 0x0
	v_cmp_ne_u64_e32 vcc_lo, v[4:5], v[6:7]
	s_and_b32 s0, s0, vcc_lo
	s_delay_alu instid0(SALU_CYCLE_1)
	s_and_b32 exec_lo, exec_lo, s0
	s_cbranch_execz .LBB49_40
; %bb.39:
	s_wait_kmcnt 0x0
	v_lshl_add_u64 v[6:7], v[4:5], 2, s[2:3]
	v_mul_f32_e32 v1, s6, v3
	global_atomic_add_f32 v[6:7], v1, off scope:SCOPE_DEV
.LBB49_40:
	s_wait_xcnt 0x0
	s_or_b32 exec_lo, exec_lo, s1
	v_cmp_lt_i64_e32 vcc_lo, -1, v[4:5]
	v_cmp_eq_u32_e64 s0, 0xff, v0
	s_and_b32 s0, s0, vcc_lo
	s_delay_alu instid0(SALU_CYCLE_1)
	s_and_saveexec_b32 s1, s0
	s_cbranch_execz .LBB49_42
; %bb.41:
	s_wait_kmcnt 0x0
	v_lshl_add_u64 v[0:1], v[4:5], 2, s[2:3]
	v_mul_f32_e32 v2, s6, v3
	global_atomic_add_f32 v[0:1], v2, off scope:SCOPE_DEV
.LBB49_42:
	s_endpgm
	.section	.rodata,"a",@progbits
	.p2align	6, 0x0
	.amdhsa_kernel _ZN9rocsparseL23coomvn_aos_atomic_loopsILj256ELj1ElDF16_DF16_ffEEvlNS_24const_host_device_scalarIT5_EEPKT1_PKT2_PKT3_PT4_21rocsparse_index_base_b
		.amdhsa_group_segment_fixed_size 3072
		.amdhsa_private_segment_fixed_size 0
		.amdhsa_kernarg_size 56
		.amdhsa_user_sgpr_count 2
		.amdhsa_user_sgpr_dispatch_ptr 0
		.amdhsa_user_sgpr_queue_ptr 0
		.amdhsa_user_sgpr_kernarg_segment_ptr 1
		.amdhsa_user_sgpr_dispatch_id 0
		.amdhsa_user_sgpr_kernarg_preload_length 0
		.amdhsa_user_sgpr_kernarg_preload_offset 0
		.amdhsa_user_sgpr_private_segment_size 0
		.amdhsa_wavefront_size32 1
		.amdhsa_uses_dynamic_stack 0
		.amdhsa_enable_private_segment 0
		.amdhsa_system_sgpr_workgroup_id_x 1
		.amdhsa_system_sgpr_workgroup_id_y 0
		.amdhsa_system_sgpr_workgroup_id_z 0
		.amdhsa_system_sgpr_workgroup_info 0
		.amdhsa_system_vgpr_workitem_id 0
		.amdhsa_next_free_vgpr 9
		.amdhsa_next_free_sgpr 14
		.amdhsa_named_barrier_count 0
		.amdhsa_reserve_vcc 1
		.amdhsa_float_round_mode_32 0
		.amdhsa_float_round_mode_16_64 0
		.amdhsa_float_denorm_mode_32 3
		.amdhsa_float_denorm_mode_16_64 3
		.amdhsa_fp16_overflow 0
		.amdhsa_memory_ordered 1
		.amdhsa_forward_progress 1
		.amdhsa_inst_pref_size 11
		.amdhsa_round_robin_scheduling 0
		.amdhsa_exception_fp_ieee_invalid_op 0
		.amdhsa_exception_fp_denorm_src 0
		.amdhsa_exception_fp_ieee_div_zero 0
		.amdhsa_exception_fp_ieee_overflow 0
		.amdhsa_exception_fp_ieee_underflow 0
		.amdhsa_exception_fp_ieee_inexact 0
		.amdhsa_exception_int_div_zero 0
	.end_amdhsa_kernel
	.section	.text._ZN9rocsparseL23coomvn_aos_atomic_loopsILj256ELj1ElDF16_DF16_ffEEvlNS_24const_host_device_scalarIT5_EEPKT1_PKT2_PKT3_PT4_21rocsparse_index_base_b,"axG",@progbits,_ZN9rocsparseL23coomvn_aos_atomic_loopsILj256ELj1ElDF16_DF16_ffEEvlNS_24const_host_device_scalarIT5_EEPKT1_PKT2_PKT3_PT4_21rocsparse_index_base_b,comdat
.Lfunc_end49:
	.size	_ZN9rocsparseL23coomvn_aos_atomic_loopsILj256ELj1ElDF16_DF16_ffEEvlNS_24const_host_device_scalarIT5_EEPKT1_PKT2_PKT3_PT4_21rocsparse_index_base_b, .Lfunc_end49-_ZN9rocsparseL23coomvn_aos_atomic_loopsILj256ELj1ElDF16_DF16_ffEEvlNS_24const_host_device_scalarIT5_EEPKT1_PKT2_PKT3_PT4_21rocsparse_index_base_b
                                        ; -- End function
	.set _ZN9rocsparseL23coomvn_aos_atomic_loopsILj256ELj1ElDF16_DF16_ffEEvlNS_24const_host_device_scalarIT5_EEPKT1_PKT2_PKT3_PT4_21rocsparse_index_base_b.num_vgpr, 9
	.set _ZN9rocsparseL23coomvn_aos_atomic_loopsILj256ELj1ElDF16_DF16_ffEEvlNS_24const_host_device_scalarIT5_EEPKT1_PKT2_PKT3_PT4_21rocsparse_index_base_b.num_agpr, 0
	.set _ZN9rocsparseL23coomvn_aos_atomic_loopsILj256ELj1ElDF16_DF16_ffEEvlNS_24const_host_device_scalarIT5_EEPKT1_PKT2_PKT3_PT4_21rocsparse_index_base_b.numbered_sgpr, 14
	.set _ZN9rocsparseL23coomvn_aos_atomic_loopsILj256ELj1ElDF16_DF16_ffEEvlNS_24const_host_device_scalarIT5_EEPKT1_PKT2_PKT3_PT4_21rocsparse_index_base_b.num_named_barrier, 0
	.set _ZN9rocsparseL23coomvn_aos_atomic_loopsILj256ELj1ElDF16_DF16_ffEEvlNS_24const_host_device_scalarIT5_EEPKT1_PKT2_PKT3_PT4_21rocsparse_index_base_b.private_seg_size, 0
	.set _ZN9rocsparseL23coomvn_aos_atomic_loopsILj256ELj1ElDF16_DF16_ffEEvlNS_24const_host_device_scalarIT5_EEPKT1_PKT2_PKT3_PT4_21rocsparse_index_base_b.uses_vcc, 1
	.set _ZN9rocsparseL23coomvn_aos_atomic_loopsILj256ELj1ElDF16_DF16_ffEEvlNS_24const_host_device_scalarIT5_EEPKT1_PKT2_PKT3_PT4_21rocsparse_index_base_b.uses_flat_scratch, 0
	.set _ZN9rocsparseL23coomvn_aos_atomic_loopsILj256ELj1ElDF16_DF16_ffEEvlNS_24const_host_device_scalarIT5_EEPKT1_PKT2_PKT3_PT4_21rocsparse_index_base_b.has_dyn_sized_stack, 0
	.set _ZN9rocsparseL23coomvn_aos_atomic_loopsILj256ELj1ElDF16_DF16_ffEEvlNS_24const_host_device_scalarIT5_EEPKT1_PKT2_PKT3_PT4_21rocsparse_index_base_b.has_recursion, 0
	.set _ZN9rocsparseL23coomvn_aos_atomic_loopsILj256ELj1ElDF16_DF16_ffEEvlNS_24const_host_device_scalarIT5_EEPKT1_PKT2_PKT3_PT4_21rocsparse_index_base_b.has_indirect_call, 0
	.section	.AMDGPU.csdata,"",@progbits
; Kernel info:
; codeLenInByte = 1352
; TotalNumSgprs: 16
; NumVgprs: 9
; ScratchSize: 0
; MemoryBound: 0
; FloatMode: 240
; IeeeMode: 1
; LDSByteSize: 3072 bytes/workgroup (compile time only)
; SGPRBlocks: 0
; VGPRBlocks: 0
; NumSGPRsForWavesPerEU: 16
; NumVGPRsForWavesPerEU: 9
; NamedBarCnt: 0
; Occupancy: 16
; WaveLimiterHint : 1
; COMPUTE_PGM_RSRC2:SCRATCH_EN: 0
; COMPUTE_PGM_RSRC2:USER_SGPR: 2
; COMPUTE_PGM_RSRC2:TRAP_HANDLER: 0
; COMPUTE_PGM_RSRC2:TGID_X_EN: 1
; COMPUTE_PGM_RSRC2:TGID_Y_EN: 0
; COMPUTE_PGM_RSRC2:TGID_Z_EN: 0
; COMPUTE_PGM_RSRC2:TIDIG_COMP_CNT: 0
	.section	.text._ZN9rocsparseL17coomvt_aos_kernelILj1024ElDF16_DF16_ffEEv20rocsparse_operation_lNS_24const_host_device_scalarIT4_EEPKT0_PKT1_PKT2_PT3_21rocsparse_index_base_b,"axG",@progbits,_ZN9rocsparseL17coomvt_aos_kernelILj1024ElDF16_DF16_ffEEv20rocsparse_operation_lNS_24const_host_device_scalarIT4_EEPKT0_PKT1_PKT2_PT3_21rocsparse_index_base_b,comdat
	.globl	_ZN9rocsparseL17coomvt_aos_kernelILj1024ElDF16_DF16_ffEEv20rocsparse_operation_lNS_24const_host_device_scalarIT4_EEPKT0_PKT1_PKT2_PT3_21rocsparse_index_base_b ; -- Begin function _ZN9rocsparseL17coomvt_aos_kernelILj1024ElDF16_DF16_ffEEv20rocsparse_operation_lNS_24const_host_device_scalarIT4_EEPKT0_PKT1_PKT2_PT3_21rocsparse_index_base_b
	.p2align	8
	.type	_ZN9rocsparseL17coomvt_aos_kernelILj1024ElDF16_DF16_ffEEv20rocsparse_operation_lNS_24const_host_device_scalarIT4_EEPKT0_PKT1_PKT2_PT3_21rocsparse_index_base_b,@function
_ZN9rocsparseL17coomvt_aos_kernelILj1024ElDF16_DF16_ffEEv20rocsparse_operation_lNS_24const_host_device_scalarIT4_EEPKT0_PKT1_PKT2_PT3_21rocsparse_index_base_b: ; @_ZN9rocsparseL17coomvt_aos_kernelILj1024ElDF16_DF16_ffEEv20rocsparse_operation_lNS_24const_host_device_scalarIT4_EEPKT0_PKT1_PKT2_PT3_21rocsparse_index_base_b
; %bb.0:
	s_clause 0x1
	s_load_b64 s[2:3], s[0:1], 0x38
	s_load_b128 s[4:7], s[0:1], 0x8
	s_wait_kmcnt 0x0
	s_bitcmp1_b32 s3, 0
	s_cselect_b32 s3, -1, 0
	s_delay_alu instid0(SALU_CYCLE_1)
	s_and_b32 vcc_lo, exec_lo, s3
	s_cbranch_vccnz .LBB50_2
; %bb.1:
	s_load_b32 s6, s[6:7], 0x0
.LBB50_2:
	s_wait_kmcnt 0x0
	s_cmp_eq_f32 s6, 0
	s_cbranch_scc1 .LBB50_5
; %bb.3:
	s_load_b32 s3, s[0:1], 0x4c
	s_bfe_u32 s7, ttmp6, 0x4000c
	s_and_b32 s8, ttmp6, 15
	s_add_co_i32 s7, s7, 1
	s_getreg_b32 s9, hwreg(HW_REG_IB_STS2, 6, 4)
	s_mul_i32 s7, ttmp9, s7
	v_mov_b32_e32 v1, 0
	s_add_co_i32 s8, s8, s7
	s_wait_kmcnt 0x0
	s_and_b32 s3, s3, 0xffff
	s_cmp_eq_u32 s9, 0
	s_cselect_b32 s7, ttmp9, s8
	s_delay_alu instid0(SALU_CYCLE_1) | instskip(SKIP_1) | instid1(VALU_DEP_1)
	v_mad_u32 v0, s7, s3, v0
	s_mov_b32 s3, exec_lo
	v_cmpx_gt_i64_e64 s[4:5], v[0:1]
	s_cbranch_execz .LBB50_5
; %bb.4:
	s_load_b256 s[8:15], s[0:1], 0x18
	s_mov_b32 s3, 0
	s_wait_kmcnt 0x0
	v_lshl_add_u64 v[2:3], v[0:1], 4, s[8:9]
	v_lshl_add_u64 v[0:1], v[0:1], 1, s[10:11]
	global_load_b128 v[2:5], v[2:3], off
	global_load_u16 v6, v[0:1], off
	s_wait_loadcnt 0x1
	s_wait_xcnt 0x1
	v_sub_nc_u64_e64 v[2:3], v[2:3], s[2:3]
	s_wait_xcnt 0x0
	s_delay_alu instid0(VALU_DEP_1)
	v_lshl_add_u64 v[0:1], v[2:3], 1, s[12:13]
	s_wait_loadcnt 0x0
	v_cvt_f32_f16_e32 v3, v6
	global_load_u16 v2, v[0:1], off
	s_wait_xcnt 0x0
	v_sub_nc_u64_e64 v[0:1], v[4:5], s[2:3]
	v_mul_f32_e32 v3, s6, v3
	s_delay_alu instid0(VALU_DEP_2) | instskip(SKIP_2) | instid1(VALU_DEP_1)
	v_lshl_add_u64 v[0:1], v[0:1], 2, s[14:15]
	s_wait_loadcnt 0x0
	v_cvt_f32_f16_e32 v2, v2
	v_mul_f32_e32 v2, v3, v2
	global_atomic_add_f32 v[0:1], v2, off scope:SCOPE_DEV
.LBB50_5:
	s_endpgm
	.section	.rodata,"a",@progbits
	.p2align	6, 0x0
	.amdhsa_kernel _ZN9rocsparseL17coomvt_aos_kernelILj1024ElDF16_DF16_ffEEv20rocsparse_operation_lNS_24const_host_device_scalarIT4_EEPKT0_PKT1_PKT2_PT3_21rocsparse_index_base_b
		.amdhsa_group_segment_fixed_size 0
		.amdhsa_private_segment_fixed_size 0
		.amdhsa_kernarg_size 320
		.amdhsa_user_sgpr_count 2
		.amdhsa_user_sgpr_dispatch_ptr 0
		.amdhsa_user_sgpr_queue_ptr 0
		.amdhsa_user_sgpr_kernarg_segment_ptr 1
		.amdhsa_user_sgpr_dispatch_id 0
		.amdhsa_user_sgpr_kernarg_preload_length 0
		.amdhsa_user_sgpr_kernarg_preload_offset 0
		.amdhsa_user_sgpr_private_segment_size 0
		.amdhsa_wavefront_size32 1
		.amdhsa_uses_dynamic_stack 0
		.amdhsa_enable_private_segment 0
		.amdhsa_system_sgpr_workgroup_id_x 1
		.amdhsa_system_sgpr_workgroup_id_y 0
		.amdhsa_system_sgpr_workgroup_id_z 0
		.amdhsa_system_sgpr_workgroup_info 0
		.amdhsa_system_vgpr_workitem_id 0
		.amdhsa_next_free_vgpr 7
		.amdhsa_next_free_sgpr 16
		.amdhsa_named_barrier_count 0
		.amdhsa_reserve_vcc 1
		.amdhsa_float_round_mode_32 0
		.amdhsa_float_round_mode_16_64 0
		.amdhsa_float_denorm_mode_32 3
		.amdhsa_float_denorm_mode_16_64 3
		.amdhsa_fp16_overflow 0
		.amdhsa_memory_ordered 1
		.amdhsa_forward_progress 1
		.amdhsa_inst_pref_size 3
		.amdhsa_round_robin_scheduling 0
		.amdhsa_exception_fp_ieee_invalid_op 0
		.amdhsa_exception_fp_denorm_src 0
		.amdhsa_exception_fp_ieee_div_zero 0
		.amdhsa_exception_fp_ieee_overflow 0
		.amdhsa_exception_fp_ieee_underflow 0
		.amdhsa_exception_fp_ieee_inexact 0
		.amdhsa_exception_int_div_zero 0
	.end_amdhsa_kernel
	.section	.text._ZN9rocsparseL17coomvt_aos_kernelILj1024ElDF16_DF16_ffEEv20rocsparse_operation_lNS_24const_host_device_scalarIT4_EEPKT0_PKT1_PKT2_PT3_21rocsparse_index_base_b,"axG",@progbits,_ZN9rocsparseL17coomvt_aos_kernelILj1024ElDF16_DF16_ffEEv20rocsparse_operation_lNS_24const_host_device_scalarIT4_EEPKT0_PKT1_PKT2_PT3_21rocsparse_index_base_b,comdat
.Lfunc_end50:
	.size	_ZN9rocsparseL17coomvt_aos_kernelILj1024ElDF16_DF16_ffEEv20rocsparse_operation_lNS_24const_host_device_scalarIT4_EEPKT0_PKT1_PKT2_PT3_21rocsparse_index_base_b, .Lfunc_end50-_ZN9rocsparseL17coomvt_aos_kernelILj1024ElDF16_DF16_ffEEv20rocsparse_operation_lNS_24const_host_device_scalarIT4_EEPKT0_PKT1_PKT2_PT3_21rocsparse_index_base_b
                                        ; -- End function
	.set _ZN9rocsparseL17coomvt_aos_kernelILj1024ElDF16_DF16_ffEEv20rocsparse_operation_lNS_24const_host_device_scalarIT4_EEPKT0_PKT1_PKT2_PT3_21rocsparse_index_base_b.num_vgpr, 7
	.set _ZN9rocsparseL17coomvt_aos_kernelILj1024ElDF16_DF16_ffEEv20rocsparse_operation_lNS_24const_host_device_scalarIT4_EEPKT0_PKT1_PKT2_PT3_21rocsparse_index_base_b.num_agpr, 0
	.set _ZN9rocsparseL17coomvt_aos_kernelILj1024ElDF16_DF16_ffEEv20rocsparse_operation_lNS_24const_host_device_scalarIT4_EEPKT0_PKT1_PKT2_PT3_21rocsparse_index_base_b.numbered_sgpr, 16
	.set _ZN9rocsparseL17coomvt_aos_kernelILj1024ElDF16_DF16_ffEEv20rocsparse_operation_lNS_24const_host_device_scalarIT4_EEPKT0_PKT1_PKT2_PT3_21rocsparse_index_base_b.num_named_barrier, 0
	.set _ZN9rocsparseL17coomvt_aos_kernelILj1024ElDF16_DF16_ffEEv20rocsparse_operation_lNS_24const_host_device_scalarIT4_EEPKT0_PKT1_PKT2_PT3_21rocsparse_index_base_b.private_seg_size, 0
	.set _ZN9rocsparseL17coomvt_aos_kernelILj1024ElDF16_DF16_ffEEv20rocsparse_operation_lNS_24const_host_device_scalarIT4_EEPKT0_PKT1_PKT2_PT3_21rocsparse_index_base_b.uses_vcc, 1
	.set _ZN9rocsparseL17coomvt_aos_kernelILj1024ElDF16_DF16_ffEEv20rocsparse_operation_lNS_24const_host_device_scalarIT4_EEPKT0_PKT1_PKT2_PT3_21rocsparse_index_base_b.uses_flat_scratch, 0
	.set _ZN9rocsparseL17coomvt_aos_kernelILj1024ElDF16_DF16_ffEEv20rocsparse_operation_lNS_24const_host_device_scalarIT4_EEPKT0_PKT1_PKT2_PT3_21rocsparse_index_base_b.has_dyn_sized_stack, 0
	.set _ZN9rocsparseL17coomvt_aos_kernelILj1024ElDF16_DF16_ffEEv20rocsparse_operation_lNS_24const_host_device_scalarIT4_EEPKT0_PKT1_PKT2_PT3_21rocsparse_index_base_b.has_recursion, 0
	.set _ZN9rocsparseL17coomvt_aos_kernelILj1024ElDF16_DF16_ffEEv20rocsparse_operation_lNS_24const_host_device_scalarIT4_EEPKT0_PKT1_PKT2_PT3_21rocsparse_index_base_b.has_indirect_call, 0
	.section	.AMDGPU.csdata,"",@progbits
; Kernel info:
; codeLenInByte = 316
; TotalNumSgprs: 18
; NumVgprs: 7
; ScratchSize: 0
; MemoryBound: 0
; FloatMode: 240
; IeeeMode: 1
; LDSByteSize: 0 bytes/workgroup (compile time only)
; SGPRBlocks: 0
; VGPRBlocks: 0
; NumSGPRsForWavesPerEU: 18
; NumVGPRsForWavesPerEU: 7
; NamedBarCnt: 0
; Occupancy: 16
; WaveLimiterHint : 1
; COMPUTE_PGM_RSRC2:SCRATCH_EN: 0
; COMPUTE_PGM_RSRC2:USER_SGPR: 2
; COMPUTE_PGM_RSRC2:TRAP_HANDLER: 0
; COMPUTE_PGM_RSRC2:TGID_X_EN: 1
; COMPUTE_PGM_RSRC2:TGID_Y_EN: 0
; COMPUTE_PGM_RSRC2:TGID_Z_EN: 0
; COMPUTE_PGM_RSRC2:TIDIG_COMP_CNT: 0
	.section	.text._ZN9rocsparseL26coomvn_aos_segmented_loopsILj256ElDF16_DF16_ffEEvlT0_NS_24const_host_device_scalarIT4_EEPKS1_PKT1_PKT2_PT3_PS1_PS3_21rocsparse_index_base_b,"axG",@progbits,_ZN9rocsparseL26coomvn_aos_segmented_loopsILj256ElDF16_DF16_ffEEvlT0_NS_24const_host_device_scalarIT4_EEPKS1_PKT1_PKT2_PT3_PS1_PS3_21rocsparse_index_base_b,comdat
	.globl	_ZN9rocsparseL26coomvn_aos_segmented_loopsILj256ElDF16_DF16_ffEEvlT0_NS_24const_host_device_scalarIT4_EEPKS1_PKT1_PKT2_PT3_PS1_PS3_21rocsparse_index_base_b ; -- Begin function _ZN9rocsparseL26coomvn_aos_segmented_loopsILj256ElDF16_DF16_ffEEvlT0_NS_24const_host_device_scalarIT4_EEPKS1_PKT1_PKT2_PT3_PS1_PS3_21rocsparse_index_base_b
	.p2align	8
	.type	_ZN9rocsparseL26coomvn_aos_segmented_loopsILj256ElDF16_DF16_ffEEvlT0_NS_24const_host_device_scalarIT4_EEPKS1_PKT1_PKT2_PT3_PS1_PS3_21rocsparse_index_base_b,@function
_ZN9rocsparseL26coomvn_aos_segmented_loopsILj256ElDF16_DF16_ffEEvlT0_NS_24const_host_device_scalarIT4_EEPKS1_PKT1_PKT2_PT3_PS1_PS3_21rocsparse_index_base_b: ; @_ZN9rocsparseL26coomvn_aos_segmented_loopsILj256ElDF16_DF16_ffEEvlT0_NS_24const_host_device_scalarIT4_EEPKS1_PKT1_PKT2_PT3_PS1_PS3_21rocsparse_index_base_b
; %bb.0:
	s_clause 0x1
	s_load_b64 s[26:27], s[0:1], 0x48
	s_load_b64 s[14:15], s[0:1], 0x10
	s_wait_kmcnt 0x0
	s_bitcmp1_b32 s27, 0
	s_cselect_b32 s2, -1, 0
	s_delay_alu instid0(SALU_CYCLE_1)
	s_and_b32 vcc_lo, exec_lo, s2
	s_cbranch_vccnz .LBB51_2
; %bb.1:
	s_load_b32 s14, s[14:15], 0x0
.LBB51_2:
	s_wait_kmcnt 0x0
	s_cmp_eq_f32 s14, 0
	s_mov_b32 s25, 0
	s_cbranch_scc1 .LBB51_89
; %bb.3:
	s_clause 0x1
	s_load_b128 s[16:19], s[0:1], 0x0
	s_load_b128 s[20:23], s[0:1], 0x18
	s_bfe_u32 s2, ttmp6, 0x4000c
	s_load_b64 s[30:31], s[0:1], 0x28
	s_add_co_i32 s2, s2, 1
	s_and_b32 s3, ttmp6, 15
	s_mul_i32 s2, ttmp9, s2
	s_getreg_b32 s4, hwreg(HW_REG_IB_STS2, 6, 4)
	s_add_co_i32 s3, s3, s2
	s_cmp_eq_u32 s4, 0
	v_mov_b64_e32 v[2:3], -1
	s_cselect_b32 s24, ttmp9, s3
	v_mov_b32_e32 v6, 0
	s_wait_kmcnt 0x0
	s_mul_u64 s[34:35], s[24:25], s[18:19]
	s_delay_alu instid0(SALU_CYCLE_1) | instskip(NEXT) | instid1(SALU_CYCLE_1)
	s_lshl_b64 s[2:3], s[34:35], 8
	v_dual_mov_b32 v5, s3 :: v_dual_bitop2_b32 v4, s2, v0 bitop3:0x54
	s_mov_b32 s2, exec_lo
	s_delay_alu instid0(VALU_DEP_1)
	v_cmpx_gt_i64_e64 s[16:17], v[4:5]
	s_cbranch_execz .LBB51_5
; %bb.4:
	v_lshl_add_u64 v[2:3], v[4:5], 4, s[20:21]
	s_mov_b32 s27, 0
	global_load_b128 v[6:9], v[2:3], off th:TH_LOAD_NT
	s_wait_loadcnt 0x0
	v_sub_nc_u64_e64 v[2:3], v[6:7], s[26:27]
	v_lshl_add_u64 v[6:7], v[8:9], 1, s[30:31]
	s_ashr_i32 s27, s26, 31
	v_lshl_add_u64 v[8:9], v[4:5], 1, s[22:23]
	s_lshl_b64 s[4:5], s[26:27], 1
	s_delay_alu instid0(VALU_DEP_2) | instid1(SALU_CYCLE_1)
	v_sub_nc_u64_e64 v[6:7], v[6:7], s[4:5]
	global_load_u16 v1, v[8:9], off
	global_load_u16 v10, v[6:7], off
	s_wait_loadcnt 0x1
	v_cvt_f32_f16_e32 v1, v1
	s_wait_loadcnt 0x0
	v_cvt_f32_f16_e32 v6, v10
	s_delay_alu instid0(VALU_DEP_1)
	v_mul_f32_e32 v6, v1, v6
.LBB51_5:
	s_or_b32 exec_lo, exec_lo, s2
	v_dual_lshlrev_b32 v7, 2, v0 :: v_dual_lshlrev_b32 v1, 3, v0
	v_cmp_eq_u32_e64 s2, 0, v0
	v_cmp_ne_u32_e64 s3, 0, v0
	ds_store_b64 v1, v[2:3]
	ds_store_b32 v7, v6 offset:2048
	v_or_b32_e32 v14, 0x800, v7
	v_add_nc_u32_e32 v15, -8, v1
	s_wait_dscnt 0x0
	s_barrier_signal -1
	s_barrier_wait -1
	s_and_saveexec_b32 s4, s3
	s_cbranch_execz .LBB51_9
; %bb.6:
	ds_load_b64 v[8:9], v15
	s_mov_b32 s5, exec_lo
	s_wait_dscnt 0x0
	v_cmpx_eq_u64_e64 v[2:3], v[8:9]
	s_cbranch_execz .LBB51_8
; %bb.7:
	v_add_nc_u32_e32 v7, -4, v14
	ds_load_b32 v7, v7
	s_wait_dscnt 0x0
	v_add_f32_e32 v6, v6, v7
.LBB51_8:
	s_or_b32 exec_lo, exec_lo, s5
.LBB51_9:
	s_delay_alu instid0(SALU_CYCLE_1)
	s_or_b32 exec_lo, exec_lo, s4
	v_cmp_lt_u32_e64 s4, 1, v0
	v_add_nc_u32_e32 v16, -16, v1
	s_barrier_signal -1
	s_barrier_wait -1
	ds_store_b32 v14, v6
	s_wait_dscnt 0x0
	s_barrier_signal -1
	s_barrier_wait -1
	s_and_saveexec_b32 s5, s4
	s_cbranch_execz .LBB51_13
; %bb.10:
	ds_load_b64 v[8:9], v16
	s_mov_b32 s6, exec_lo
	s_wait_dscnt 0x0
	v_cmpx_eq_u64_e64 v[2:3], v[8:9]
	s_cbranch_execz .LBB51_12
; %bb.11:
	v_add_nc_u32_e32 v7, -8, v14
	ds_load_b32 v7, v7
	s_wait_dscnt 0x0
	v_add_f32_e32 v6, v6, v7
.LBB51_12:
	s_or_b32 exec_lo, exec_lo, s6
.LBB51_13:
	s_delay_alu instid0(SALU_CYCLE_1)
	s_or_b32 exec_lo, exec_lo, s5
	v_cmp_lt_u32_e64 s5, 3, v0
	v_subrev_nc_u32_e32 v17, 32, v1
	s_barrier_signal -1
	s_barrier_wait -1
	ds_store_b32 v14, v6
	s_wait_dscnt 0x0
	s_barrier_signal -1
	s_barrier_wait -1
	s_and_saveexec_b32 s6, s5
	s_cbranch_execz .LBB51_17
; %bb.14:
	ds_load_b64 v[8:9], v17
	s_mov_b32 s7, exec_lo
	s_wait_dscnt 0x0
	v_cmpx_eq_u64_e64 v[2:3], v[8:9]
	s_cbranch_execz .LBB51_16
; %bb.15:
	v_add_nc_u32_e32 v7, -16, v14
	ds_load_b32 v7, v7
	s_wait_dscnt 0x0
	v_add_f32_e32 v6, v6, v7
.LBB51_16:
	s_or_b32 exec_lo, exec_lo, s7
.LBB51_17:
	s_delay_alu instid0(SALU_CYCLE_1)
	s_or_b32 exec_lo, exec_lo, s6
	v_cmp_lt_u32_e64 s6, 7, v0
	v_subrev_nc_u32_e32 v18, 64, v1
	s_barrier_signal -1
	s_barrier_wait -1
	ds_store_b32 v14, v6
	s_wait_dscnt 0x0
	s_barrier_signal -1
	s_barrier_wait -1
	s_and_saveexec_b32 s7, s6
	s_cbranch_execz .LBB51_21
; %bb.18:
	ds_load_b64 v[8:9], v18
	s_mov_b32 s8, exec_lo
	s_wait_dscnt 0x0
	v_cmpx_eq_u64_e64 v[2:3], v[8:9]
	s_cbranch_execz .LBB51_20
; %bb.19:
	v_subrev_nc_u32_e32 v7, 32, v14
	ds_load_b32 v7, v7
	s_wait_dscnt 0x0
	v_add_f32_e32 v6, v6, v7
.LBB51_20:
	s_or_b32 exec_lo, exec_lo, s8
.LBB51_21:
	s_delay_alu instid0(SALU_CYCLE_1)
	s_or_b32 exec_lo, exec_lo, s7
	v_cmp_lt_u32_e64 s7, 15, v0
	v_add_nc_u32_e32 v19, 0xffffff80, v1
	s_barrier_signal -1
	s_barrier_wait -1
	ds_store_b32 v14, v6
	s_wait_dscnt 0x0
	s_barrier_signal -1
	s_barrier_wait -1
	s_and_saveexec_b32 s8, s7
	s_cbranch_execz .LBB51_25
; %bb.22:
	ds_load_b64 v[8:9], v19
	s_mov_b32 s9, exec_lo
	s_wait_dscnt 0x0
	v_cmpx_eq_u64_e64 v[2:3], v[8:9]
	s_cbranch_execz .LBB51_24
; %bb.23:
	v_subrev_nc_u32_e32 v7, 64, v14
	ds_load_b32 v7, v7
	s_wait_dscnt 0x0
	v_add_f32_e32 v6, v6, v7
.LBB51_24:
	s_or_b32 exec_lo, exec_lo, s9
.LBB51_25:
	s_delay_alu instid0(SALU_CYCLE_1)
	s_or_b32 exec_lo, exec_lo, s8
	v_cmp_lt_u32_e64 s8, 31, v0
	v_add_nc_u32_e32 v20, 0xffffff00, v1
	s_barrier_signal -1
	s_barrier_wait -1
	ds_store_b32 v14, v6
	s_wait_dscnt 0x0
	s_barrier_signal -1
	s_barrier_wait -1
	s_and_saveexec_b32 s9, s8
	s_cbranch_execz .LBB51_29
; %bb.26:
	ds_load_b64 v[8:9], v20
	s_mov_b32 s10, exec_lo
	s_wait_dscnt 0x0
	v_cmpx_eq_u64_e64 v[2:3], v[8:9]
	s_cbranch_execz .LBB51_28
; %bb.27:
	v_add_nc_u32_e32 v7, 0xffffff80, v14
	ds_load_b32 v7, v7
	s_wait_dscnt 0x0
	v_add_f32_e32 v6, v6, v7
.LBB51_28:
	s_or_b32 exec_lo, exec_lo, s10
.LBB51_29:
	s_delay_alu instid0(SALU_CYCLE_1)
	s_or_b32 exec_lo, exec_lo, s9
	v_cmp_lt_u32_e64 s9, 63, v0
	v_add_nc_u32_e32 v21, 0xfffffe00, v1
	s_barrier_signal -1
	s_barrier_wait -1
	ds_store_b32 v14, v6
	s_wait_dscnt 0x0
	s_barrier_signal -1
	s_barrier_wait -1
	s_and_saveexec_b32 s10, s9
	s_cbranch_execz .LBB51_33
; %bb.30:
	ds_load_b64 v[8:9], v21
	s_mov_b32 s11, exec_lo
	s_wait_dscnt 0x0
	v_cmpx_eq_u64_e64 v[2:3], v[8:9]
	s_cbranch_execz .LBB51_32
; %bb.31:
	v_add_nc_u32_e32 v7, 0xffffff00, v14
	ds_load_b32 v7, v7
	s_wait_dscnt 0x0
	v_add_f32_e32 v6, v6, v7
.LBB51_32:
	s_or_b32 exec_lo, exec_lo, s11
.LBB51_33:
	;; [unrolled: 26-line block ×3, first 2 shown]
	s_delay_alu instid0(SALU_CYCLE_1)
	s_or_b32 exec_lo, exec_lo, s11
	s_load_b64 s[28:29], s[0:1], 0x30
	v_cmp_gt_u32_e64 s11, 0xff, v0
	s_barrier_signal -1
	s_barrier_wait -1
	ds_store_b32 v14, v6
	s_wait_dscnt 0x0
	s_barrier_signal -1
	s_barrier_wait -1
	s_and_saveexec_b32 s13, s11
	s_cbranch_execz .LBB51_40
; %bb.38:
	ds_load_b64 v[8:9], v1 offset:8
	v_cmp_lt_i64_e64 s12, -1, v[2:3]
	s_wait_dscnt 0x0
	v_cmp_ne_u64_e32 vcc_lo, v[2:3], v[8:9]
	s_and_b32 s12, s12, vcc_lo
	s_delay_alu instid0(SALU_CYCLE_1)
	s_and_b32 exec_lo, exec_lo, s12
	s_cbranch_execz .LBB51_40
; %bb.39:
	s_wait_kmcnt 0x0
	v_lshl_add_u64 v[8:9], v[2:3], 2, s[28:29]
	global_load_b32 v7, v[8:9], off
	s_wait_loadcnt 0x0
	v_fmac_f32_e32 v7, s14, v6
	global_store_b32 v[8:9], v7, off
.LBB51_40:
	s_wait_xcnt 0x0
	s_or_b32 exec_lo, exec_lo, s13
	v_cmp_lt_i64_e64 s12, s[18:19], 2
	s_and_b32 vcc_lo, exec_lo, s12
	s_cbranch_vccnz .LBB51_87
; %bb.41:
	v_dual_mov_b32 v7, 0 :: v_dual_lshlrev_b32 v6, 1, v0
	s_lshl_b64 s[12:13], s[34:35], 9
	v_add_nc_u64_e32 v[4:5], 0x100, v[4:5]
	s_add_nc_u64 s[12:13], s[22:23], s[12:13]
	v_add_nc_u32_e32 v23, -4, v14
	v_add_nc_u64_e32 v[2:3], s[12:13], v[6:7]
	v_lshlrev_b32_e32 v6, 4, v0
	s_lshl_b64 s[12:13], s[34:35], 12
	s_ashr_i32 s37, s26, 31
	s_add_nc_u64 s[12:13], s[20:21], s[12:13]
	s_mov_b32 s36, s26
	v_add_nc_u64_e32 v[10:11], s[12:13], v[6:7]
	v_add_nc_u64_e32 v[8:9], 0x200, v[2:3]
	v_dual_add_nc_u32 v24, -8, v14 :: v_dual_add_nc_u32 v25, -16, v14
	v_subrev_nc_u32_e32 v26, 32, v14
	v_subrev_nc_u32_e32 v27, 64, v14
	v_add_nc_u32_e32 v28, 0xffffff80, v14
	v_add_nc_u64_e32 v[10:11], 0x1000, v[10:11]
	v_add_nc_u32_e32 v29, 0xffffff00, v14
	v_add_nc_u32_e32 v30, 0xfffffe00, v14
	s_lshl_b64 s[22:23], s[36:37], 1
	s_add_nc_u64 s[18:19], s[18:19], -1
	s_mov_b32 s27, 0
	s_sub_nc_u64 s[20:21], s[30:31], s[22:23]
	s_mov_b64 s[22:23], 0
	s_branch .LBB51_43
.LBB51_42:                              ;   in Loop: Header=BB51_43 Depth=1
	s_wait_xcnt 0x0
	s_or_b32 exec_lo, exec_lo, s13
	s_add_nc_u64 s[22:23], s[22:23], 1
	v_add_nc_u64_e32 v[8:9], 0x200, v[8:9]
	v_cmp_le_u64_e64 s12, s[18:19], s[22:23]
	v_add_nc_u64_e32 v[10:11], 0x1000, v[10:11]
	v_add_nc_u64_e32 v[4:5], 0x100, v[4:5]
	s_and_b32 vcc_lo, exec_lo, s12
	s_cbranch_vccnz .LBB51_87
.LBB51_43:                              ; =>This Inner Loop Header: Depth=1
	v_mov_b64_e32 v[2:3], -1
	v_mov_b32_e32 v6, 0
	s_mov_b32 s12, exec_lo
	s_delay_alu instid0(VALU_DEP_3)
	v_cmpx_gt_i64_e64 s[16:17], v[4:5]
	s_cbranch_execz .LBB51_45
; %bb.44:                               ;   in Loop: Header=BB51_43 Depth=1
	global_load_b128 v[32:35], v[10:11], off th:TH_LOAD_NT
	s_wait_loadcnt 0x0
	v_lshl_add_u64 v[2:3], v[34:35], 1, s[20:21]
	global_load_u16 v6, v[8:9], off
	global_load_u16 v12, v[2:3], off
	s_wait_xcnt 0x0
	v_sub_nc_u64_e64 v[2:3], v[32:33], s[26:27]
	s_wait_loadcnt 0x1
	v_cvt_f32_f16_e32 v6, v6
	s_wait_loadcnt 0x0
	v_cvt_f32_f16_e32 v12, v12
	s_delay_alu instid0(VALU_DEP_1)
	v_mul_f32_e32 v6, v6, v12
.LBB51_45:                              ;   in Loop: Header=BB51_43 Depth=1
	s_or_b32 exec_lo, exec_lo, s12
	s_and_saveexec_b32 s12, s2
	s_cbranch_execz .LBB51_52
; %bb.46:                               ;   in Loop: Header=BB51_43 Depth=1
	ds_load_b64 v[12:13], v7 offset:2040
	s_mov_b32 s13, exec_lo
	s_wait_dscnt 0x0
	v_cmpx_ne_u64_e64 v[2:3], v[12:13]
	s_xor_b32 s13, exec_lo, s13
	s_cbranch_execz .LBB51_49
; %bb.47:                               ;   in Loop: Header=BB51_43 Depth=1
	v_cmp_gt_i64_e32 vcc_lo, 0, v[12:13]
	s_cbranch_vccnz .LBB51_49
; %bb.48:                               ;   in Loop: Header=BB51_43 Depth=1
	v_lshlrev_b64_e32 v[12:13], 2, v[12:13]
	ds_load_b32 v32, v7 offset:3068
	s_wait_kmcnt 0x0
	v_add_nc_u64_e32 v[12:13], s[28:29], v[12:13]
	global_load_b32 v31, v[12:13], off
	s_wait_loadcnt_dscnt 0x0
	v_fmac_f32_e32 v31, s14, v32
	global_store_b32 v[12:13], v31, off
.LBB51_49:                              ;   in Loop: Header=BB51_43 Depth=1
	s_wait_xcnt 0x0
	s_and_not1_saveexec_b32 s13, s13
	s_cbranch_execz .LBB51_51
; %bb.50:                               ;   in Loop: Header=BB51_43 Depth=1
	ds_load_b32 v12, v7 offset:3068
	s_wait_dscnt 0x0
	v_add_f32_e32 v6, v6, v12
.LBB51_51:                              ;   in Loop: Header=BB51_43 Depth=1
	s_or_b32 exec_lo, exec_lo, s13
.LBB51_52:                              ;   in Loop: Header=BB51_43 Depth=1
	s_delay_alu instid0(SALU_CYCLE_1)
	s_or_b32 exec_lo, exec_lo, s12
	s_wait_storecnt 0x0
	s_barrier_signal -1
	s_barrier_wait -1
	ds_store_b64 v1, v[2:3]
	ds_store_b32 v14, v6
	s_wait_dscnt 0x0
	s_barrier_signal -1
	s_barrier_wait -1
	s_and_saveexec_b32 s12, s3
	s_cbranch_execz .LBB51_56
; %bb.53:                               ;   in Loop: Header=BB51_43 Depth=1
	ds_load_b64 v[12:13], v15
	s_mov_b32 s13, exec_lo
	s_wait_dscnt 0x0
	v_cmpx_eq_u64_e64 v[2:3], v[12:13]
	s_cbranch_execz .LBB51_55
; %bb.54:                               ;   in Loop: Header=BB51_43 Depth=1
	ds_load_b32 v12, v23
	s_wait_dscnt 0x0
	v_add_f32_e32 v6, v6, v12
.LBB51_55:                              ;   in Loop: Header=BB51_43 Depth=1
	s_or_b32 exec_lo, exec_lo, s13
.LBB51_56:                              ;   in Loop: Header=BB51_43 Depth=1
	s_delay_alu instid0(SALU_CYCLE_1)
	s_or_b32 exec_lo, exec_lo, s12
	s_barrier_signal -1
	s_barrier_wait -1
	ds_store_b32 v14, v6
	s_wait_dscnt 0x0
	s_barrier_signal -1
	s_barrier_wait -1
	s_and_saveexec_b32 s12, s4
	s_cbranch_execz .LBB51_60
; %bb.57:                               ;   in Loop: Header=BB51_43 Depth=1
	ds_load_b64 v[12:13], v16
	s_mov_b32 s13, exec_lo
	s_wait_dscnt 0x0
	v_cmpx_eq_u64_e64 v[2:3], v[12:13]
	s_cbranch_execz .LBB51_59
; %bb.58:                               ;   in Loop: Header=BB51_43 Depth=1
	ds_load_b32 v12, v24
	s_wait_dscnt 0x0
	v_add_f32_e32 v6, v6, v12
.LBB51_59:                              ;   in Loop: Header=BB51_43 Depth=1
	s_or_b32 exec_lo, exec_lo, s13
.LBB51_60:                              ;   in Loop: Header=BB51_43 Depth=1
	s_delay_alu instid0(SALU_CYCLE_1)
	s_or_b32 exec_lo, exec_lo, s12
	s_barrier_signal -1
	s_barrier_wait -1
	;; [unrolled: 23-line block ×8, first 2 shown]
	ds_store_b32 v14, v6
	s_wait_dscnt 0x0
	s_barrier_signal -1
	s_barrier_wait -1
	s_and_saveexec_b32 s13, s11
	s_cbranch_execz .LBB51_42
; %bb.85:                               ;   in Loop: Header=BB51_43 Depth=1
	ds_load_b64 v[12:13], v1 offset:8
	v_cmp_lt_i64_e64 s12, -1, v[2:3]
	s_wait_dscnt 0x0
	v_cmp_ne_u64_e32 vcc_lo, v[2:3], v[12:13]
	s_and_b32 s12, s12, vcc_lo
	s_delay_alu instid0(SALU_CYCLE_1)
	s_and_b32 exec_lo, exec_lo, s12
	s_cbranch_execz .LBB51_42
; %bb.86:                               ;   in Loop: Header=BB51_43 Depth=1
	s_wait_kmcnt 0x0
	v_lshl_add_u64 v[12:13], v[2:3], 2, s[28:29]
	global_load_b32 v31, v[12:13], off
	s_wait_loadcnt 0x0
	v_fmac_f32_e32 v31, s14, v6
	global_store_b32 v[12:13], v31, off
	s_branch .LBB51_42
.LBB51_87:
	s_load_b128 s[0:3], s[0:1], 0x38
	s_mov_b32 s4, exec_lo
	v_cmpx_eq_u32_e32 0xff, v0
	s_cbranch_execz .LBB51_89
; %bb.88:
	v_dual_mov_b32 v0, 0 :: v_dual_mul_f32 v1, s14, v6
	s_lshl_b64 s[4:5], s[24:25], 3
	s_lshl_b64 s[6:7], s[24:25], 2
	s_wait_kmcnt 0x0
	s_add_nc_u64 s[0:1], s[0:1], s[4:5]
	s_add_nc_u64 s[2:3], s[2:3], s[6:7]
	s_clause 0x1
	global_store_b64 v0, v[2:3], s[0:1] th:TH_STORE_NT
	global_store_b32 v0, v1, s[2:3] th:TH_STORE_NT
.LBB51_89:
	s_endpgm
	.section	.rodata,"a",@progbits
	.p2align	6, 0x0
	.amdhsa_kernel _ZN9rocsparseL26coomvn_aos_segmented_loopsILj256ElDF16_DF16_ffEEvlT0_NS_24const_host_device_scalarIT4_EEPKS1_PKT1_PKT2_PT3_PS1_PS3_21rocsparse_index_base_b
		.amdhsa_group_segment_fixed_size 3072
		.amdhsa_private_segment_fixed_size 0
		.amdhsa_kernarg_size 80
		.amdhsa_user_sgpr_count 2
		.amdhsa_user_sgpr_dispatch_ptr 0
		.amdhsa_user_sgpr_queue_ptr 0
		.amdhsa_user_sgpr_kernarg_segment_ptr 1
		.amdhsa_user_sgpr_dispatch_id 0
		.amdhsa_user_sgpr_kernarg_preload_length 0
		.amdhsa_user_sgpr_kernarg_preload_offset 0
		.amdhsa_user_sgpr_private_segment_size 0
		.amdhsa_wavefront_size32 1
		.amdhsa_uses_dynamic_stack 0
		.amdhsa_enable_private_segment 0
		.amdhsa_system_sgpr_workgroup_id_x 1
		.amdhsa_system_sgpr_workgroup_id_y 0
		.amdhsa_system_sgpr_workgroup_id_z 0
		.amdhsa_system_sgpr_workgroup_info 0
		.amdhsa_system_vgpr_workitem_id 0
		.amdhsa_next_free_vgpr 36
		.amdhsa_next_free_sgpr 38
		.amdhsa_named_barrier_count 0
		.amdhsa_reserve_vcc 1
		.amdhsa_float_round_mode_32 0
		.amdhsa_float_round_mode_16_64 0
		.amdhsa_float_denorm_mode_32 3
		.amdhsa_float_denorm_mode_16_64 3
		.amdhsa_fp16_overflow 0
		.amdhsa_memory_ordered 1
		.amdhsa_forward_progress 1
		.amdhsa_inst_pref_size 22
		.amdhsa_round_robin_scheduling 0
		.amdhsa_exception_fp_ieee_invalid_op 0
		.amdhsa_exception_fp_denorm_src 0
		.amdhsa_exception_fp_ieee_div_zero 0
		.amdhsa_exception_fp_ieee_overflow 0
		.amdhsa_exception_fp_ieee_underflow 0
		.amdhsa_exception_fp_ieee_inexact 0
		.amdhsa_exception_int_div_zero 0
	.end_amdhsa_kernel
	.section	.text._ZN9rocsparseL26coomvn_aos_segmented_loopsILj256ElDF16_DF16_ffEEvlT0_NS_24const_host_device_scalarIT4_EEPKS1_PKT1_PKT2_PT3_PS1_PS3_21rocsparse_index_base_b,"axG",@progbits,_ZN9rocsparseL26coomvn_aos_segmented_loopsILj256ElDF16_DF16_ffEEvlT0_NS_24const_host_device_scalarIT4_EEPKS1_PKT1_PKT2_PT3_PS1_PS3_21rocsparse_index_base_b,comdat
.Lfunc_end51:
	.size	_ZN9rocsparseL26coomvn_aos_segmented_loopsILj256ElDF16_DF16_ffEEvlT0_NS_24const_host_device_scalarIT4_EEPKS1_PKT1_PKT2_PT3_PS1_PS3_21rocsparse_index_base_b, .Lfunc_end51-_ZN9rocsparseL26coomvn_aos_segmented_loopsILj256ElDF16_DF16_ffEEvlT0_NS_24const_host_device_scalarIT4_EEPKS1_PKT1_PKT2_PT3_PS1_PS3_21rocsparse_index_base_b
                                        ; -- End function
	.set _ZN9rocsparseL26coomvn_aos_segmented_loopsILj256ElDF16_DF16_ffEEvlT0_NS_24const_host_device_scalarIT4_EEPKS1_PKT1_PKT2_PT3_PS1_PS3_21rocsparse_index_base_b.num_vgpr, 36
	.set _ZN9rocsparseL26coomvn_aos_segmented_loopsILj256ElDF16_DF16_ffEEvlT0_NS_24const_host_device_scalarIT4_EEPKS1_PKT1_PKT2_PT3_PS1_PS3_21rocsparse_index_base_b.num_agpr, 0
	.set _ZN9rocsparseL26coomvn_aos_segmented_loopsILj256ElDF16_DF16_ffEEvlT0_NS_24const_host_device_scalarIT4_EEPKS1_PKT1_PKT2_PT3_PS1_PS3_21rocsparse_index_base_b.numbered_sgpr, 38
	.set _ZN9rocsparseL26coomvn_aos_segmented_loopsILj256ElDF16_DF16_ffEEvlT0_NS_24const_host_device_scalarIT4_EEPKS1_PKT1_PKT2_PT3_PS1_PS3_21rocsparse_index_base_b.num_named_barrier, 0
	.set _ZN9rocsparseL26coomvn_aos_segmented_loopsILj256ElDF16_DF16_ffEEvlT0_NS_24const_host_device_scalarIT4_EEPKS1_PKT1_PKT2_PT3_PS1_PS3_21rocsparse_index_base_b.private_seg_size, 0
	.set _ZN9rocsparseL26coomvn_aos_segmented_loopsILj256ElDF16_DF16_ffEEvlT0_NS_24const_host_device_scalarIT4_EEPKS1_PKT1_PKT2_PT3_PS1_PS3_21rocsparse_index_base_b.uses_vcc, 1
	.set _ZN9rocsparseL26coomvn_aos_segmented_loopsILj256ElDF16_DF16_ffEEvlT0_NS_24const_host_device_scalarIT4_EEPKS1_PKT1_PKT2_PT3_PS1_PS3_21rocsparse_index_base_b.uses_flat_scratch, 0
	.set _ZN9rocsparseL26coomvn_aos_segmented_loopsILj256ElDF16_DF16_ffEEvlT0_NS_24const_host_device_scalarIT4_EEPKS1_PKT1_PKT2_PT3_PS1_PS3_21rocsparse_index_base_b.has_dyn_sized_stack, 0
	.set _ZN9rocsparseL26coomvn_aos_segmented_loopsILj256ElDF16_DF16_ffEEvlT0_NS_24const_host_device_scalarIT4_EEPKS1_PKT1_PKT2_PT3_PS1_PS3_21rocsparse_index_base_b.has_recursion, 0
	.set _ZN9rocsparseL26coomvn_aos_segmented_loopsILj256ElDF16_DF16_ffEEvlT0_NS_24const_host_device_scalarIT4_EEPKS1_PKT1_PKT2_PT3_PS1_PS3_21rocsparse_index_base_b.has_indirect_call, 0
	.section	.AMDGPU.csdata,"",@progbits
; Kernel info:
; codeLenInByte = 2804
; TotalNumSgprs: 40
; NumVgprs: 36
; ScratchSize: 0
; MemoryBound: 1
; FloatMode: 240
; IeeeMode: 1
; LDSByteSize: 3072 bytes/workgroup (compile time only)
; SGPRBlocks: 0
; VGPRBlocks: 2
; NumSGPRsForWavesPerEU: 40
; NumVGPRsForWavesPerEU: 36
; NamedBarCnt: 0
; Occupancy: 16
; WaveLimiterHint : 1
; COMPUTE_PGM_RSRC2:SCRATCH_EN: 0
; COMPUTE_PGM_RSRC2:USER_SGPR: 2
; COMPUTE_PGM_RSRC2:TRAP_HANDLER: 0
; COMPUTE_PGM_RSRC2:TGID_X_EN: 1
; COMPUTE_PGM_RSRC2:TGID_Y_EN: 0
; COMPUTE_PGM_RSRC2:TGID_Z_EN: 0
; COMPUTE_PGM_RSRC2:TIDIG_COMP_CNT: 0
	.section	.text._ZN9rocsparseL23coomvn_aos_atomic_loopsILj256ELj1Ei18rocsparse_bfloat16S1_ffEEvlNS_24const_host_device_scalarIT5_EEPKT1_PKT2_PKT3_PT4_21rocsparse_index_base_b,"axG",@progbits,_ZN9rocsparseL23coomvn_aos_atomic_loopsILj256ELj1Ei18rocsparse_bfloat16S1_ffEEvlNS_24const_host_device_scalarIT5_EEPKT1_PKT2_PKT3_PT4_21rocsparse_index_base_b,comdat
	.globl	_ZN9rocsparseL23coomvn_aos_atomic_loopsILj256ELj1Ei18rocsparse_bfloat16S1_ffEEvlNS_24const_host_device_scalarIT5_EEPKT1_PKT2_PKT3_PT4_21rocsparse_index_base_b ; -- Begin function _ZN9rocsparseL23coomvn_aos_atomic_loopsILj256ELj1Ei18rocsparse_bfloat16S1_ffEEvlNS_24const_host_device_scalarIT5_EEPKT1_PKT2_PKT3_PT4_21rocsparse_index_base_b
	.p2align	8
	.type	_ZN9rocsparseL23coomvn_aos_atomic_loopsILj256ELj1Ei18rocsparse_bfloat16S1_ffEEvlNS_24const_host_device_scalarIT5_EEPKT1_PKT2_PKT3_PT4_21rocsparse_index_base_b,@function
_ZN9rocsparseL23coomvn_aos_atomic_loopsILj256ELj1Ei18rocsparse_bfloat16S1_ffEEvlNS_24const_host_device_scalarIT5_EEPKT1_PKT2_PKT3_PT4_21rocsparse_index_base_b: ; @_ZN9rocsparseL23coomvn_aos_atomic_loopsILj256ELj1Ei18rocsparse_bfloat16S1_ffEEvlNS_24const_host_device_scalarIT5_EEPKT1_PKT2_PKT3_PT4_21rocsparse_index_base_b
; %bb.0:
	s_clause 0x1
	s_load_b64 s[2:3], s[0:1], 0x30
	s_load_b128 s[4:7], s[0:1], 0x0
	s_wait_kmcnt 0x0
	s_bitcmp1_b32 s3, 0
	s_cselect_b32 s3, -1, 0
	s_delay_alu instid0(SALU_CYCLE_1)
	s_and_b32 vcc_lo, exec_lo, s3
	s_cbranch_vccnz .LBB52_2
; %bb.1:
	s_load_b32 s6, s[6:7], 0x0
.LBB52_2:
	s_wait_kmcnt 0x0
	s_cmp_eq_f32 s6, 0
	s_cbranch_scc1 .LBB52_42
; %bb.3:
	s_bfe_u32 s3, ttmp6, 0x4000c
	s_and_b32 s7, ttmp6, 15
	s_add_co_i32 s3, s3, 1
	s_getreg_b32 s8, hwreg(HW_REG_IB_STS2, 6, 4)
	s_mul_i32 s3, ttmp9, s3
	v_dual_mov_b32 v3, 0 :: v_dual_mov_b32 v1, -1
	s_add_co_i32 s7, s7, s3
	s_cmp_eq_u32 s8, 0
	s_cselect_b32 s3, ttmp9, s7
	s_delay_alu instid0(SALU_CYCLE_1) | instskip(SKIP_1) | instid1(VALU_DEP_1)
	v_lshl_or_b32 v2, s3, 8, v0
	s_mov_b32 s3, exec_lo
	v_cmpx_gt_i64_e64 s[4:5], v[2:3]
	s_cbranch_execz .LBB52_5
; %bb.4:
	s_clause 0x1
	s_load_b128 s[8:11], s[0:1], 0x10
	s_load_b64 s[4:5], s[0:1], 0x20
	s_wait_kmcnt 0x0
	v_lshl_add_u64 v[4:5], v[2:3], 3, s[8:9]
	v_lshl_add_u64 v[2:3], v[2:3], 1, s[10:11]
	global_load_b64 v[4:5], v[4:5], off th:TH_LOAD_NT
	s_wait_loadcnt 0x0
	v_subrev_nc_u32_e32 v1, s2, v5
	global_load_u16 v5, v[2:3], off
	global_load_u16 v6, v1, s[4:5] scale_offset
	s_wait_xcnt 0x0
	v_subrev_nc_u32_e32 v1, s2, v4
	s_wait_loadcnt 0x0
	v_dual_lshlrev_b32 v2, 16, v5 :: v_dual_lshlrev_b32 v3, 16, v6
	s_delay_alu instid0(VALU_DEP_1)
	v_mul_f32_e32 v3, v3, v2
.LBB52_5:
	s_or_b32 exec_lo, exec_lo, s3
	v_lshlrev_b32_e32 v2, 2, v0
	s_mov_b32 s2, exec_lo
	s_delay_alu instid0(VALU_DEP_1)
	v_or_b32_e32 v4, 0x400, v2
	ds_store_2addr_stride64_b32 v2, v1, v3 offset1:4
	s_wait_dscnt 0x0
	s_barrier_signal -1
	s_barrier_wait -1
	v_cmpx_ne_u32_e32 0, v0
	s_cbranch_execz .LBB52_9
; %bb.6:
	v_add_nc_u32_e32 v5, -4, v2
	s_mov_b32 s3, exec_lo
	ds_load_b32 v5, v5
	s_wait_dscnt 0x0
	v_cmpx_eq_u32_e64 v1, v5
	s_cbranch_execz .LBB52_8
; %bb.7:
	v_add_nc_u32_e32 v5, -4, v4
	ds_load_b32 v5, v5
	s_wait_dscnt 0x0
	v_add_f32_e32 v3, v3, v5
.LBB52_8:
	s_or_b32 exec_lo, exec_lo, s3
.LBB52_9:
	s_delay_alu instid0(SALU_CYCLE_1) | instskip(NEXT) | instid1(SALU_CYCLE_1)
	s_or_b32 exec_lo, exec_lo, s2
	s_mov_b32 s2, exec_lo
	s_barrier_signal -1
	s_barrier_wait -1
	ds_store_b32 v4, v3
	s_wait_dscnt 0x0
	s_barrier_signal -1
	s_barrier_wait -1
	v_cmpx_lt_u32_e32 1, v0
	s_cbranch_execz .LBB52_13
; %bb.10:
	v_add_nc_u32_e32 v5, -8, v2
	s_mov_b32 s3, exec_lo
	ds_load_b32 v5, v5
	s_wait_dscnt 0x0
	v_cmpx_eq_u32_e64 v1, v5
	s_cbranch_execz .LBB52_12
; %bb.11:
	v_add_nc_u32_e32 v5, -8, v4
	ds_load_b32 v5, v5
	s_wait_dscnt 0x0
	v_add_f32_e32 v3, v3, v5
.LBB52_12:
	s_or_b32 exec_lo, exec_lo, s3
.LBB52_13:
	s_delay_alu instid0(SALU_CYCLE_1) | instskip(NEXT) | instid1(SALU_CYCLE_1)
	s_or_b32 exec_lo, exec_lo, s2
	s_mov_b32 s2, exec_lo
	s_barrier_signal -1
	s_barrier_wait -1
	ds_store_b32 v4, v3
	s_wait_dscnt 0x0
	s_barrier_signal -1
	s_barrier_wait -1
	v_cmpx_lt_u32_e32 3, v0
	;; [unrolled: 26-line block ×3, first 2 shown]
	s_cbranch_execz .LBB52_21
; %bb.18:
	v_subrev_nc_u32_e32 v5, 32, v2
	s_mov_b32 s3, exec_lo
	ds_load_b32 v5, v5
	s_wait_dscnt 0x0
	v_cmpx_eq_u32_e64 v1, v5
	s_cbranch_execz .LBB52_20
; %bb.19:
	v_subrev_nc_u32_e32 v5, 32, v4
	ds_load_b32 v5, v5
	s_wait_dscnt 0x0
	v_add_f32_e32 v3, v3, v5
.LBB52_20:
	s_or_b32 exec_lo, exec_lo, s3
.LBB52_21:
	s_delay_alu instid0(SALU_CYCLE_1) | instskip(NEXT) | instid1(SALU_CYCLE_1)
	s_or_b32 exec_lo, exec_lo, s2
	s_mov_b32 s2, exec_lo
	s_barrier_signal -1
	s_barrier_wait -1
	ds_store_b32 v4, v3
	s_wait_dscnt 0x0
	s_barrier_signal -1
	s_barrier_wait -1
	v_cmpx_lt_u32_e32 15, v0
	s_cbranch_execz .LBB52_25
; %bb.22:
	v_subrev_nc_u32_e32 v5, 64, v2
	s_mov_b32 s3, exec_lo
	ds_load_b32 v5, v5
	s_wait_dscnt 0x0
	v_cmpx_eq_u32_e64 v1, v5
	s_cbranch_execz .LBB52_24
; %bb.23:
	v_subrev_nc_u32_e32 v5, 64, v4
	ds_load_b32 v5, v5
	s_wait_dscnt 0x0
	v_add_f32_e32 v3, v3, v5
.LBB52_24:
	s_or_b32 exec_lo, exec_lo, s3
.LBB52_25:
	s_delay_alu instid0(SALU_CYCLE_1) | instskip(NEXT) | instid1(SALU_CYCLE_1)
	s_or_b32 exec_lo, exec_lo, s2
	s_mov_b32 s2, exec_lo
	s_barrier_signal -1
	s_barrier_wait -1
	ds_store_b32 v4, v3
	s_wait_dscnt 0x0
	s_barrier_signal -1
	s_barrier_wait -1
	v_cmpx_lt_u32_e32 31, v0
	s_cbranch_execz .LBB52_29
; %bb.26:
	v_add_nc_u32_e32 v5, 0xffffff80, v2
	s_mov_b32 s3, exec_lo
	ds_load_b32 v5, v5
	s_wait_dscnt 0x0
	v_cmpx_eq_u32_e64 v1, v5
	s_cbranch_execz .LBB52_28
; %bb.27:
	v_add_nc_u32_e32 v5, 0xffffff80, v4
	ds_load_b32 v5, v5
	s_wait_dscnt 0x0
	v_add_f32_e32 v3, v3, v5
.LBB52_28:
	s_or_b32 exec_lo, exec_lo, s3
.LBB52_29:
	s_delay_alu instid0(SALU_CYCLE_1) | instskip(NEXT) | instid1(SALU_CYCLE_1)
	s_or_b32 exec_lo, exec_lo, s2
	s_mov_b32 s2, exec_lo
	s_barrier_signal -1
	s_barrier_wait -1
	ds_store_b32 v4, v3
	s_wait_dscnt 0x0
	s_barrier_signal -1
	s_barrier_wait -1
	v_cmpx_lt_u32_e32 63, v0
	s_cbranch_execz .LBB52_33
; %bb.30:
	v_add_nc_u32_e32 v5, 0xffffff00, v2
	s_mov_b32 s3, exec_lo
	ds_load_b32 v5, v5
	s_wait_dscnt 0x0
	v_cmpx_eq_u32_e64 v1, v5
	s_cbranch_execz .LBB52_32
; %bb.31:
	v_add_nc_u32_e32 v5, 0xffffff00, v4
	ds_load_b32 v5, v5
	s_wait_dscnt 0x0
	v_add_f32_e32 v3, v3, v5
.LBB52_32:
	s_or_b32 exec_lo, exec_lo, s3
.LBB52_33:
	s_delay_alu instid0(SALU_CYCLE_1)
	s_or_b32 exec_lo, exec_lo, s2
	s_load_b64 s[2:3], s[0:1], 0x28
	s_wait_xcnt 0x0
	s_mov_b32 s0, exec_lo
	s_barrier_signal -1
	s_barrier_wait -1
	ds_store_b32 v4, v3
	s_wait_dscnt 0x0
	s_barrier_signal -1
	s_barrier_wait -1
	v_cmpx_lt_u32_e32 0x7f, v0
	s_cbranch_execz .LBB52_37
; %bb.34:
	v_add_nc_u32_e32 v5, 0xfffffe00, v2
	s_mov_b32 s1, exec_lo
	ds_load_b32 v5, v5
	s_wait_dscnt 0x0
	v_cmpx_eq_u32_e64 v1, v5
	s_cbranch_execz .LBB52_36
; %bb.35:
	v_add_nc_u32_e32 v5, 0xfffffe00, v4
	ds_load_b32 v5, v5
	s_wait_dscnt 0x0
	v_add_f32_e32 v3, v3, v5
.LBB52_36:
	s_or_b32 exec_lo, exec_lo, s1
.LBB52_37:
	s_delay_alu instid0(SALU_CYCLE_1) | instskip(NEXT) | instid1(SALU_CYCLE_1)
	s_or_b32 exec_lo, exec_lo, s0
	s_mov_b32 s1, exec_lo
	s_barrier_signal -1
	s_barrier_wait -1
	ds_store_b32 v4, v3
	s_wait_dscnt 0x0
	s_barrier_signal -1
	s_barrier_wait -1
	v_cmpx_gt_u32_e32 0xff, v0
	s_cbranch_execz .LBB52_40
; %bb.38:
	ds_load_b32 v2, v2 offset:4
	v_cmp_lt_i32_e64 s0, -1, v1
	s_wait_dscnt 0x0
	v_cmp_ne_u32_e32 vcc_lo, v1, v2
	s_and_b32 s0, s0, vcc_lo
	s_delay_alu instid0(SALU_CYCLE_1)
	s_and_b32 exec_lo, exec_lo, s0
	s_cbranch_execz .LBB52_40
; %bb.39:
	v_mul_f32_e32 v2, s6, v3
	s_wait_kmcnt 0x0
	global_atomic_add_f32 v1, v2, s[2:3] scale_offset scope:SCOPE_DEV
.LBB52_40:
	s_wait_xcnt 0x0
	s_or_b32 exec_lo, exec_lo, s1
	v_cmp_eq_u32_e32 vcc_lo, 0xff, v0
	v_cmp_lt_i32_e64 s0, -1, v1
	s_and_b32 s0, vcc_lo, s0
	s_delay_alu instid0(SALU_CYCLE_1)
	s_and_saveexec_b32 s1, s0
	s_cbranch_execz .LBB52_42
; %bb.41:
	v_mul_f32_e32 v0, s6, v3
	s_wait_kmcnt 0x0
	global_atomic_add_f32 v1, v0, s[2:3] scale_offset scope:SCOPE_DEV
.LBB52_42:
	s_endpgm
	.section	.rodata,"a",@progbits
	.p2align	6, 0x0
	.amdhsa_kernel _ZN9rocsparseL23coomvn_aos_atomic_loopsILj256ELj1Ei18rocsparse_bfloat16S1_ffEEvlNS_24const_host_device_scalarIT5_EEPKT1_PKT2_PKT3_PT4_21rocsparse_index_base_b
		.amdhsa_group_segment_fixed_size 2048
		.amdhsa_private_segment_fixed_size 0
		.amdhsa_kernarg_size 56
		.amdhsa_user_sgpr_count 2
		.amdhsa_user_sgpr_dispatch_ptr 0
		.amdhsa_user_sgpr_queue_ptr 0
		.amdhsa_user_sgpr_kernarg_segment_ptr 1
		.amdhsa_user_sgpr_dispatch_id 0
		.amdhsa_user_sgpr_kernarg_preload_length 0
		.amdhsa_user_sgpr_kernarg_preload_offset 0
		.amdhsa_user_sgpr_private_segment_size 0
		.amdhsa_wavefront_size32 1
		.amdhsa_uses_dynamic_stack 0
		.amdhsa_enable_private_segment 0
		.amdhsa_system_sgpr_workgroup_id_x 1
		.amdhsa_system_sgpr_workgroup_id_y 0
		.amdhsa_system_sgpr_workgroup_id_z 0
		.amdhsa_system_sgpr_workgroup_info 0
		.amdhsa_system_vgpr_workitem_id 0
		.amdhsa_next_free_vgpr 7
		.amdhsa_next_free_sgpr 12
		.amdhsa_named_barrier_count 0
		.amdhsa_reserve_vcc 1
		.amdhsa_float_round_mode_32 0
		.amdhsa_float_round_mode_16_64 0
		.amdhsa_float_denorm_mode_32 3
		.amdhsa_float_denorm_mode_16_64 3
		.amdhsa_fp16_overflow 0
		.amdhsa_memory_ordered 1
		.amdhsa_forward_progress 1
		.amdhsa_inst_pref_size 11
		.amdhsa_round_robin_scheduling 0
		.amdhsa_exception_fp_ieee_invalid_op 0
		.amdhsa_exception_fp_denorm_src 0
		.amdhsa_exception_fp_ieee_div_zero 0
		.amdhsa_exception_fp_ieee_overflow 0
		.amdhsa_exception_fp_ieee_underflow 0
		.amdhsa_exception_fp_ieee_inexact 0
		.amdhsa_exception_int_div_zero 0
	.end_amdhsa_kernel
	.section	.text._ZN9rocsparseL23coomvn_aos_atomic_loopsILj256ELj1Ei18rocsparse_bfloat16S1_ffEEvlNS_24const_host_device_scalarIT5_EEPKT1_PKT2_PKT3_PT4_21rocsparse_index_base_b,"axG",@progbits,_ZN9rocsparseL23coomvn_aos_atomic_loopsILj256ELj1Ei18rocsparse_bfloat16S1_ffEEvlNS_24const_host_device_scalarIT5_EEPKT1_PKT2_PKT3_PT4_21rocsparse_index_base_b,comdat
.Lfunc_end52:
	.size	_ZN9rocsparseL23coomvn_aos_atomic_loopsILj256ELj1Ei18rocsparse_bfloat16S1_ffEEvlNS_24const_host_device_scalarIT5_EEPKT1_PKT2_PKT3_PT4_21rocsparse_index_base_b, .Lfunc_end52-_ZN9rocsparseL23coomvn_aos_atomic_loopsILj256ELj1Ei18rocsparse_bfloat16S1_ffEEvlNS_24const_host_device_scalarIT5_EEPKT1_PKT2_PKT3_PT4_21rocsparse_index_base_b
                                        ; -- End function
	.set _ZN9rocsparseL23coomvn_aos_atomic_loopsILj256ELj1Ei18rocsparse_bfloat16S1_ffEEvlNS_24const_host_device_scalarIT5_EEPKT1_PKT2_PKT3_PT4_21rocsparse_index_base_b.num_vgpr, 7
	.set _ZN9rocsparseL23coomvn_aos_atomic_loopsILj256ELj1Ei18rocsparse_bfloat16S1_ffEEvlNS_24const_host_device_scalarIT5_EEPKT1_PKT2_PKT3_PT4_21rocsparse_index_base_b.num_agpr, 0
	.set _ZN9rocsparseL23coomvn_aos_atomic_loopsILj256ELj1Ei18rocsparse_bfloat16S1_ffEEvlNS_24const_host_device_scalarIT5_EEPKT1_PKT2_PKT3_PT4_21rocsparse_index_base_b.numbered_sgpr, 12
	.set _ZN9rocsparseL23coomvn_aos_atomic_loopsILj256ELj1Ei18rocsparse_bfloat16S1_ffEEvlNS_24const_host_device_scalarIT5_EEPKT1_PKT2_PKT3_PT4_21rocsparse_index_base_b.num_named_barrier, 0
	.set _ZN9rocsparseL23coomvn_aos_atomic_loopsILj256ELj1Ei18rocsparse_bfloat16S1_ffEEvlNS_24const_host_device_scalarIT5_EEPKT1_PKT2_PKT3_PT4_21rocsparse_index_base_b.private_seg_size, 0
	.set _ZN9rocsparseL23coomvn_aos_atomic_loopsILj256ELj1Ei18rocsparse_bfloat16S1_ffEEvlNS_24const_host_device_scalarIT5_EEPKT1_PKT2_PKT3_PT4_21rocsparse_index_base_b.uses_vcc, 1
	.set _ZN9rocsparseL23coomvn_aos_atomic_loopsILj256ELj1Ei18rocsparse_bfloat16S1_ffEEvlNS_24const_host_device_scalarIT5_EEPKT1_PKT2_PKT3_PT4_21rocsparse_index_base_b.uses_flat_scratch, 0
	.set _ZN9rocsparseL23coomvn_aos_atomic_loopsILj256ELj1Ei18rocsparse_bfloat16S1_ffEEvlNS_24const_host_device_scalarIT5_EEPKT1_PKT2_PKT3_PT4_21rocsparse_index_base_b.has_dyn_sized_stack, 0
	.set _ZN9rocsparseL23coomvn_aos_atomic_loopsILj256ELj1Ei18rocsparse_bfloat16S1_ffEEvlNS_24const_host_device_scalarIT5_EEPKT1_PKT2_PKT3_PT4_21rocsparse_index_base_b.has_recursion, 0
	.set _ZN9rocsparseL23coomvn_aos_atomic_loopsILj256ELj1Ei18rocsparse_bfloat16S1_ffEEvlNS_24const_host_device_scalarIT5_EEPKT1_PKT2_PKT3_PT4_21rocsparse_index_base_b.has_indirect_call, 0
	.section	.AMDGPU.csdata,"",@progbits
; Kernel info:
; codeLenInByte = 1308
; TotalNumSgprs: 14
; NumVgprs: 7
; ScratchSize: 0
; MemoryBound: 0
; FloatMode: 240
; IeeeMode: 1
; LDSByteSize: 2048 bytes/workgroup (compile time only)
; SGPRBlocks: 0
; VGPRBlocks: 0
; NumSGPRsForWavesPerEU: 14
; NumVGPRsForWavesPerEU: 7
; NamedBarCnt: 0
; Occupancy: 16
; WaveLimiterHint : 1
; COMPUTE_PGM_RSRC2:SCRATCH_EN: 0
; COMPUTE_PGM_RSRC2:USER_SGPR: 2
; COMPUTE_PGM_RSRC2:TRAP_HANDLER: 0
; COMPUTE_PGM_RSRC2:TGID_X_EN: 1
; COMPUTE_PGM_RSRC2:TGID_Y_EN: 0
; COMPUTE_PGM_RSRC2:TGID_Z_EN: 0
; COMPUTE_PGM_RSRC2:TIDIG_COMP_CNT: 0
	.section	.text._ZN9rocsparseL17coomvt_aos_kernelILj1024Ei18rocsparse_bfloat16S1_ffEEv20rocsparse_operation_lNS_24const_host_device_scalarIT4_EEPKT0_PKT1_PKT2_PT3_21rocsparse_index_base_b,"axG",@progbits,_ZN9rocsparseL17coomvt_aos_kernelILj1024Ei18rocsparse_bfloat16S1_ffEEv20rocsparse_operation_lNS_24const_host_device_scalarIT4_EEPKT0_PKT1_PKT2_PT3_21rocsparse_index_base_b,comdat
	.globl	_ZN9rocsparseL17coomvt_aos_kernelILj1024Ei18rocsparse_bfloat16S1_ffEEv20rocsparse_operation_lNS_24const_host_device_scalarIT4_EEPKT0_PKT1_PKT2_PT3_21rocsparse_index_base_b ; -- Begin function _ZN9rocsparseL17coomvt_aos_kernelILj1024Ei18rocsparse_bfloat16S1_ffEEv20rocsparse_operation_lNS_24const_host_device_scalarIT4_EEPKT0_PKT1_PKT2_PT3_21rocsparse_index_base_b
	.p2align	8
	.type	_ZN9rocsparseL17coomvt_aos_kernelILj1024Ei18rocsparse_bfloat16S1_ffEEv20rocsparse_operation_lNS_24const_host_device_scalarIT4_EEPKT0_PKT1_PKT2_PT3_21rocsparse_index_base_b,@function
_ZN9rocsparseL17coomvt_aos_kernelILj1024Ei18rocsparse_bfloat16S1_ffEEv20rocsparse_operation_lNS_24const_host_device_scalarIT4_EEPKT0_PKT1_PKT2_PT3_21rocsparse_index_base_b: ; @_ZN9rocsparseL17coomvt_aos_kernelILj1024Ei18rocsparse_bfloat16S1_ffEEv20rocsparse_operation_lNS_24const_host_device_scalarIT4_EEPKT0_PKT1_PKT2_PT3_21rocsparse_index_base_b
; %bb.0:
	s_clause 0x1
	s_load_b64 s[2:3], s[0:1], 0x38
	s_load_b128 s[4:7], s[0:1], 0x8
	s_wait_kmcnt 0x0
	s_bitcmp1_b32 s3, 0
	s_cselect_b32 s3, -1, 0
	s_delay_alu instid0(SALU_CYCLE_1)
	s_and_b32 vcc_lo, exec_lo, s3
	s_cbranch_vccnz .LBB53_2
; %bb.1:
	s_load_b32 s6, s[6:7], 0x0
.LBB53_2:
	s_wait_kmcnt 0x0
	s_cmp_eq_f32 s6, 0
	s_cbranch_scc1 .LBB53_5
; %bb.3:
	s_load_b32 s3, s[0:1], 0x4c
	s_bfe_u32 s7, ttmp6, 0x4000c
	s_and_b32 s8, ttmp6, 15
	s_add_co_i32 s7, s7, 1
	s_getreg_b32 s9, hwreg(HW_REG_IB_STS2, 6, 4)
	s_mul_i32 s7, ttmp9, s7
	v_mov_b32_e32 v1, 0
	s_add_co_i32 s8, s8, s7
	s_wait_kmcnt 0x0
	s_and_b32 s3, s3, 0xffff
	s_cmp_eq_u32 s9, 0
	s_cselect_b32 s7, ttmp9, s8
	s_delay_alu instid0(SALU_CYCLE_1) | instskip(SKIP_1) | instid1(VALU_DEP_1)
	v_mad_u32 v0, s7, s3, v0
	s_mov_b32 s3, exec_lo
	v_cmpx_gt_i64_e64 s[4:5], v[0:1]
	s_cbranch_execz .LBB53_5
; %bb.4:
	s_load_b256 s[8:15], s[0:1], 0x18
	s_wait_kmcnt 0x0
	v_lshl_add_u64 v[2:3], v[0:1], 3, s[8:9]
	v_lshl_add_u64 v[0:1], v[0:1], 1, s[10:11]
	global_load_b64 v[2:3], v[2:3], off
	global_load_u16 v0, v[0:1], off
	s_wait_loadcnt 0x1
	s_wait_xcnt 0x0
	v_subrev_nc_u32_e32 v1, s2, v2
	v_subrev_nc_u32_e32 v2, s2, v3
	global_load_u16 v1, v1, s[12:13] scale_offset
	s_wait_loadcnt 0x0
	v_dual_lshlrev_b32 v0, 16, v0 :: v_dual_lshlrev_b32 v1, 16, v1
	s_delay_alu instid0(VALU_DEP_1) | instskip(NEXT) | instid1(VALU_DEP_1)
	v_mul_f32_e32 v0, s6, v0
	v_mul_f32_e32 v0, v0, v1
	global_atomic_add_f32 v2, v0, s[14:15] scale_offset scope:SCOPE_DEV
.LBB53_5:
	s_endpgm
	.section	.rodata,"a",@progbits
	.p2align	6, 0x0
	.amdhsa_kernel _ZN9rocsparseL17coomvt_aos_kernelILj1024Ei18rocsparse_bfloat16S1_ffEEv20rocsparse_operation_lNS_24const_host_device_scalarIT4_EEPKT0_PKT1_PKT2_PT3_21rocsparse_index_base_b
		.amdhsa_group_segment_fixed_size 0
		.amdhsa_private_segment_fixed_size 0
		.amdhsa_kernarg_size 320
		.amdhsa_user_sgpr_count 2
		.amdhsa_user_sgpr_dispatch_ptr 0
		.amdhsa_user_sgpr_queue_ptr 0
		.amdhsa_user_sgpr_kernarg_segment_ptr 1
		.amdhsa_user_sgpr_dispatch_id 0
		.amdhsa_user_sgpr_kernarg_preload_length 0
		.amdhsa_user_sgpr_kernarg_preload_offset 0
		.amdhsa_user_sgpr_private_segment_size 0
		.amdhsa_wavefront_size32 1
		.amdhsa_uses_dynamic_stack 0
		.amdhsa_enable_private_segment 0
		.amdhsa_system_sgpr_workgroup_id_x 1
		.amdhsa_system_sgpr_workgroup_id_y 0
		.amdhsa_system_sgpr_workgroup_id_z 0
		.amdhsa_system_sgpr_workgroup_info 0
		.amdhsa_system_vgpr_workitem_id 0
		.amdhsa_next_free_vgpr 4
		.amdhsa_next_free_sgpr 16
		.amdhsa_named_barrier_count 0
		.amdhsa_reserve_vcc 1
		.amdhsa_float_round_mode_32 0
		.amdhsa_float_round_mode_16_64 0
		.amdhsa_float_denorm_mode_32 3
		.amdhsa_float_denorm_mode_16_64 3
		.amdhsa_fp16_overflow 0
		.amdhsa_memory_ordered 1
		.amdhsa_forward_progress 1
		.amdhsa_inst_pref_size 3
		.amdhsa_round_robin_scheduling 0
		.amdhsa_exception_fp_ieee_invalid_op 0
		.amdhsa_exception_fp_denorm_src 0
		.amdhsa_exception_fp_ieee_div_zero 0
		.amdhsa_exception_fp_ieee_overflow 0
		.amdhsa_exception_fp_ieee_underflow 0
		.amdhsa_exception_fp_ieee_inexact 0
		.amdhsa_exception_int_div_zero 0
	.end_amdhsa_kernel
	.section	.text._ZN9rocsparseL17coomvt_aos_kernelILj1024Ei18rocsparse_bfloat16S1_ffEEv20rocsparse_operation_lNS_24const_host_device_scalarIT4_EEPKT0_PKT1_PKT2_PT3_21rocsparse_index_base_b,"axG",@progbits,_ZN9rocsparseL17coomvt_aos_kernelILj1024Ei18rocsparse_bfloat16S1_ffEEv20rocsparse_operation_lNS_24const_host_device_scalarIT4_EEPKT0_PKT1_PKT2_PT3_21rocsparse_index_base_b,comdat
.Lfunc_end53:
	.size	_ZN9rocsparseL17coomvt_aos_kernelILj1024Ei18rocsparse_bfloat16S1_ffEEv20rocsparse_operation_lNS_24const_host_device_scalarIT4_EEPKT0_PKT1_PKT2_PT3_21rocsparse_index_base_b, .Lfunc_end53-_ZN9rocsparseL17coomvt_aos_kernelILj1024Ei18rocsparse_bfloat16S1_ffEEv20rocsparse_operation_lNS_24const_host_device_scalarIT4_EEPKT0_PKT1_PKT2_PT3_21rocsparse_index_base_b
                                        ; -- End function
	.set _ZN9rocsparseL17coomvt_aos_kernelILj1024Ei18rocsparse_bfloat16S1_ffEEv20rocsparse_operation_lNS_24const_host_device_scalarIT4_EEPKT0_PKT1_PKT2_PT3_21rocsparse_index_base_b.num_vgpr, 4
	.set _ZN9rocsparseL17coomvt_aos_kernelILj1024Ei18rocsparse_bfloat16S1_ffEEv20rocsparse_operation_lNS_24const_host_device_scalarIT4_EEPKT0_PKT1_PKT2_PT3_21rocsparse_index_base_b.num_agpr, 0
	.set _ZN9rocsparseL17coomvt_aos_kernelILj1024Ei18rocsparse_bfloat16S1_ffEEv20rocsparse_operation_lNS_24const_host_device_scalarIT4_EEPKT0_PKT1_PKT2_PT3_21rocsparse_index_base_b.numbered_sgpr, 16
	.set _ZN9rocsparseL17coomvt_aos_kernelILj1024Ei18rocsparse_bfloat16S1_ffEEv20rocsparse_operation_lNS_24const_host_device_scalarIT4_EEPKT0_PKT1_PKT2_PT3_21rocsparse_index_base_b.num_named_barrier, 0
	.set _ZN9rocsparseL17coomvt_aos_kernelILj1024Ei18rocsparse_bfloat16S1_ffEEv20rocsparse_operation_lNS_24const_host_device_scalarIT4_EEPKT0_PKT1_PKT2_PT3_21rocsparse_index_base_b.private_seg_size, 0
	.set _ZN9rocsparseL17coomvt_aos_kernelILj1024Ei18rocsparse_bfloat16S1_ffEEv20rocsparse_operation_lNS_24const_host_device_scalarIT4_EEPKT0_PKT1_PKT2_PT3_21rocsparse_index_base_b.uses_vcc, 1
	.set _ZN9rocsparseL17coomvt_aos_kernelILj1024Ei18rocsparse_bfloat16S1_ffEEv20rocsparse_operation_lNS_24const_host_device_scalarIT4_EEPKT0_PKT1_PKT2_PT3_21rocsparse_index_base_b.uses_flat_scratch, 0
	.set _ZN9rocsparseL17coomvt_aos_kernelILj1024Ei18rocsparse_bfloat16S1_ffEEv20rocsparse_operation_lNS_24const_host_device_scalarIT4_EEPKT0_PKT1_PKT2_PT3_21rocsparse_index_base_b.has_dyn_sized_stack, 0
	.set _ZN9rocsparseL17coomvt_aos_kernelILj1024Ei18rocsparse_bfloat16S1_ffEEv20rocsparse_operation_lNS_24const_host_device_scalarIT4_EEPKT0_PKT1_PKT2_PT3_21rocsparse_index_base_b.has_recursion, 0
	.set _ZN9rocsparseL17coomvt_aos_kernelILj1024Ei18rocsparse_bfloat16S1_ffEEv20rocsparse_operation_lNS_24const_host_device_scalarIT4_EEPKT0_PKT1_PKT2_PT3_21rocsparse_index_base_b.has_indirect_call, 0
	.section	.AMDGPU.csdata,"",@progbits
; Kernel info:
; codeLenInByte = 276
; TotalNumSgprs: 18
; NumVgprs: 4
; ScratchSize: 0
; MemoryBound: 0
; FloatMode: 240
; IeeeMode: 1
; LDSByteSize: 0 bytes/workgroup (compile time only)
; SGPRBlocks: 0
; VGPRBlocks: 0
; NumSGPRsForWavesPerEU: 18
; NumVGPRsForWavesPerEU: 4
; NamedBarCnt: 0
; Occupancy: 16
; WaveLimiterHint : 1
; COMPUTE_PGM_RSRC2:SCRATCH_EN: 0
; COMPUTE_PGM_RSRC2:USER_SGPR: 2
; COMPUTE_PGM_RSRC2:TRAP_HANDLER: 0
; COMPUTE_PGM_RSRC2:TGID_X_EN: 1
; COMPUTE_PGM_RSRC2:TGID_Y_EN: 0
; COMPUTE_PGM_RSRC2:TGID_Z_EN: 0
; COMPUTE_PGM_RSRC2:TIDIG_COMP_CNT: 0
	.section	.text._ZN9rocsparseL26coomvn_aos_segmented_loopsILj256Ei18rocsparse_bfloat16S1_ffEEvlT0_NS_24const_host_device_scalarIT4_EEPKS2_PKT1_PKT2_PT3_PS2_PS4_21rocsparse_index_base_b,"axG",@progbits,_ZN9rocsparseL26coomvn_aos_segmented_loopsILj256Ei18rocsparse_bfloat16S1_ffEEvlT0_NS_24const_host_device_scalarIT4_EEPKS2_PKT1_PKT2_PT3_PS2_PS4_21rocsparse_index_base_b,comdat
	.globl	_ZN9rocsparseL26coomvn_aos_segmented_loopsILj256Ei18rocsparse_bfloat16S1_ffEEvlT0_NS_24const_host_device_scalarIT4_EEPKS2_PKT1_PKT2_PT3_PS2_PS4_21rocsparse_index_base_b ; -- Begin function _ZN9rocsparseL26coomvn_aos_segmented_loopsILj256Ei18rocsparse_bfloat16S1_ffEEvlT0_NS_24const_host_device_scalarIT4_EEPKS2_PKT1_PKT2_PT3_PS2_PS4_21rocsparse_index_base_b
	.p2align	8
	.type	_ZN9rocsparseL26coomvn_aos_segmented_loopsILj256Ei18rocsparse_bfloat16S1_ffEEvlT0_NS_24const_host_device_scalarIT4_EEPKS2_PKT1_PKT2_PT3_PS2_PS4_21rocsparse_index_base_b,@function
_ZN9rocsparseL26coomvn_aos_segmented_loopsILj256Ei18rocsparse_bfloat16S1_ffEEvlT0_NS_24const_host_device_scalarIT4_EEPKS2_PKT1_PKT2_PT3_PS2_PS4_21rocsparse_index_base_b: ; @_ZN9rocsparseL26coomvn_aos_segmented_loopsILj256Ei18rocsparse_bfloat16S1_ffEEvlT0_NS_24const_host_device_scalarIT4_EEPKS2_PKT1_PKT2_PT3_PS2_PS4_21rocsparse_index_base_b
; %bb.0:
	s_clause 0x1
	s_load_b64 s[22:23], s[0:1], 0x48
	s_load_b64 s[20:21], s[0:1], 0x10
	s_wait_kmcnt 0x0
	s_bitcmp1_b32 s23, 0
	s_cselect_b32 s2, -1, 0
	s_delay_alu instid0(SALU_CYCLE_1)
	s_and_b32 vcc_lo, exec_lo, s2
	s_cbranch_vccnz .LBB54_2
; %bb.1:
	s_load_b32 s20, s[20:21], 0x0
.LBB54_2:
	s_wait_kmcnt 0x0
	s_cmp_eq_f32 s20, 0
	s_cbranch_scc1 .LBB54_89
; %bb.3:
	s_clause 0x1
	s_load_b96 s[16:18], s[0:1], 0x0
	s_load_b128 s[4:7], s[0:1], 0x18
	s_bfe_u32 s2, ttmp6, 0x4000c
	s_load_b64 s[26:27], s[0:1], 0x28
	s_add_co_i32 s2, s2, 1
	s_and_b32 s3, ttmp6, 15
	s_mul_i32 s2, ttmp9, s2
	s_getreg_b32 s8, hwreg(HW_REG_IB_STS2, 6, 4)
	s_add_co_i32 s3, s3, s2
	s_cmp_eq_u32 s8, 0
	v_dual_mov_b32 v3, 0 :: v_dual_mov_b32 v8, -1
	s_cselect_b32 s19, ttmp9, s3
	s_delay_alu instid0(VALU_DEP_1) | instskip(SKIP_2) | instid1(SALU_CYCLE_1)
	v_mov_b32_e32 v11, v3
	s_wait_kmcnt 0x0
	s_mul_i32 s2, s19, s18
	v_lshl_or_b32 v2, s2, 8, v0
	s_mov_b32 s2, exec_lo
	s_delay_alu instid0(VALU_DEP_1)
	v_lshl_add_u64 v[4:5], v[2:3], 3, s[4:5]
	v_lshl_add_u64 v[6:7], v[2:3], 1, s[6:7]
	v_cmpx_gt_i64_e64 s[16:17], v[2:3]
	s_cbranch_execz .LBB54_5
; %bb.4:
	global_load_b64 v[8:9], v[4:5], off th:TH_LOAD_NT
	s_ashr_i32 s23, s22, 31
	s_delay_alu instid0(SALU_CYCLE_1) | instskip(SKIP_3) | instid1(VALU_DEP_2)
	s_lshl_b64 s[4:5], s[22:23], 1
	s_wait_loadcnt 0x0
	v_dual_mov_b32 v10, v9 :: v_dual_ashrrev_i32 v11, 31, v9
	v_subrev_nc_u32_e32 v8, s22, v8
	v_lshl_add_u64 v[10:11], v[10:11], 1, s[26:27]
	s_delay_alu instid0(VALU_DEP_1)
	v_sub_nc_u64_e64 v[10:11], v[10:11], s[4:5]
	global_load_u16 v1, v[10:11], off
	global_load_u16 v9, v[6:7], off
	s_wait_loadcnt 0x1
	v_lshlrev_b32_e32 v1, 16, v1
	s_wait_loadcnt 0x0
	v_lshlrev_b32_e32 v9, 16, v9
	s_delay_alu instid0(VALU_DEP_1)
	v_mul_f32_e32 v11, v1, v9
.LBB54_5:
	s_or_b32 exec_lo, exec_lo, s2
	v_lshlrev_b32_e32 v1, 2, v0
	v_cmp_eq_u32_e64 s2, 0, v0
	v_cmp_ne_u32_e64 s3, 0, v0
	s_delay_alu instid0(VALU_DEP_3)
	v_or_b32_e32 v9, 0x400, v1
	v_add_nc_u32_e32 v10, -4, v1
	ds_store_2addr_stride64_b32 v1, v8, v11 offset1:4
	s_wait_dscnt 0x0
	s_barrier_signal -1
	s_barrier_wait -1
	s_and_saveexec_b32 s4, s3
	s_cbranch_execz .LBB54_9
; %bb.6:
	ds_load_b32 v12, v10
	s_mov_b32 s5, exec_lo
	s_wait_dscnt 0x0
	v_cmpx_eq_u32_e64 v8, v12
	s_cbranch_execz .LBB54_8
; %bb.7:
	v_add_nc_u32_e32 v12, -4, v9
	ds_load_b32 v12, v12
	s_wait_dscnt 0x0
	v_add_f32_e32 v11, v11, v12
.LBB54_8:
	s_or_b32 exec_lo, exec_lo, s5
.LBB54_9:
	s_delay_alu instid0(SALU_CYCLE_1)
	s_or_b32 exec_lo, exec_lo, s4
	v_cmp_lt_u32_e64 s4, 1, v0
	v_add_nc_u32_e32 v12, -8, v1
	s_barrier_signal -1
	s_barrier_wait -1
	ds_store_b32 v9, v11
	s_wait_dscnt 0x0
	s_barrier_signal -1
	s_barrier_wait -1
	s_and_saveexec_b32 s5, s4
	s_cbranch_execz .LBB54_13
; %bb.10:
	ds_load_b32 v13, v12
	s_mov_b32 s6, exec_lo
	s_wait_dscnt 0x0
	v_cmpx_eq_u32_e64 v8, v13
	s_cbranch_execz .LBB54_12
; %bb.11:
	v_add_nc_u32_e32 v13, -8, v9
	ds_load_b32 v13, v13
	s_wait_dscnt 0x0
	v_add_f32_e32 v11, v11, v13
.LBB54_12:
	s_or_b32 exec_lo, exec_lo, s6
.LBB54_13:
	s_delay_alu instid0(SALU_CYCLE_1)
	s_or_b32 exec_lo, exec_lo, s5
	v_cmp_lt_u32_e64 s5, 3, v0
	v_add_nc_u32_e32 v13, -16, v1
	s_barrier_signal -1
	s_barrier_wait -1
	ds_store_b32 v9, v11
	s_wait_dscnt 0x0
	s_barrier_signal -1
	s_barrier_wait -1
	s_and_saveexec_b32 s6, s5
	s_cbranch_execz .LBB54_17
; %bb.14:
	ds_load_b32 v14, v13
	s_mov_b32 s7, exec_lo
	s_wait_dscnt 0x0
	v_cmpx_eq_u32_e64 v8, v14
	s_cbranch_execz .LBB54_16
; %bb.15:
	v_add_nc_u32_e32 v14, -16, v9
	ds_load_b32 v14, v14
	s_wait_dscnt 0x0
	v_add_f32_e32 v11, v11, v14
.LBB54_16:
	s_or_b32 exec_lo, exec_lo, s7
.LBB54_17:
	s_delay_alu instid0(SALU_CYCLE_1)
	s_or_b32 exec_lo, exec_lo, s6
	v_cmp_lt_u32_e64 s6, 7, v0
	v_subrev_nc_u32_e32 v14, 32, v1
	s_barrier_signal -1
	s_barrier_wait -1
	ds_store_b32 v9, v11
	s_wait_dscnt 0x0
	s_barrier_signal -1
	s_barrier_wait -1
	s_and_saveexec_b32 s7, s6
	s_cbranch_execz .LBB54_21
; %bb.18:
	ds_load_b32 v15, v14
	s_mov_b32 s8, exec_lo
	s_wait_dscnt 0x0
	v_cmpx_eq_u32_e64 v8, v15
	s_cbranch_execz .LBB54_20
; %bb.19:
	v_subrev_nc_u32_e32 v15, 32, v9
	ds_load_b32 v15, v15
	s_wait_dscnt 0x0
	v_add_f32_e32 v11, v11, v15
.LBB54_20:
	s_or_b32 exec_lo, exec_lo, s8
.LBB54_21:
	s_delay_alu instid0(SALU_CYCLE_1)
	s_or_b32 exec_lo, exec_lo, s7
	v_cmp_lt_u32_e64 s7, 15, v0
	v_subrev_nc_u32_e32 v15, 64, v1
	s_barrier_signal -1
	s_barrier_wait -1
	ds_store_b32 v9, v11
	s_wait_dscnt 0x0
	s_barrier_signal -1
	s_barrier_wait -1
	s_and_saveexec_b32 s8, s7
	s_cbranch_execz .LBB54_25
; %bb.22:
	ds_load_b32 v16, v15
	s_mov_b32 s9, exec_lo
	s_wait_dscnt 0x0
	v_cmpx_eq_u32_e64 v8, v16
	s_cbranch_execz .LBB54_24
; %bb.23:
	v_subrev_nc_u32_e32 v16, 64, v9
	ds_load_b32 v16, v16
	s_wait_dscnt 0x0
	v_add_f32_e32 v11, v11, v16
.LBB54_24:
	s_or_b32 exec_lo, exec_lo, s9
.LBB54_25:
	s_delay_alu instid0(SALU_CYCLE_1)
	s_or_b32 exec_lo, exec_lo, s8
	v_cmp_lt_u32_e64 s8, 31, v0
	v_add_nc_u32_e32 v16, 0xffffff80, v1
	s_barrier_signal -1
	s_barrier_wait -1
	ds_store_b32 v9, v11
	s_wait_dscnt 0x0
	s_barrier_signal -1
	s_barrier_wait -1
	s_and_saveexec_b32 s9, s8
	s_cbranch_execz .LBB54_29
; %bb.26:
	ds_load_b32 v17, v16
	s_mov_b32 s10, exec_lo
	s_wait_dscnt 0x0
	v_cmpx_eq_u32_e64 v8, v17
	s_cbranch_execz .LBB54_28
; %bb.27:
	v_add_nc_u32_e32 v17, 0xffffff80, v9
	ds_load_b32 v17, v17
	s_wait_dscnt 0x0
	v_add_f32_e32 v11, v11, v17
.LBB54_28:
	s_or_b32 exec_lo, exec_lo, s10
.LBB54_29:
	s_delay_alu instid0(SALU_CYCLE_1)
	s_or_b32 exec_lo, exec_lo, s9
	v_cmp_lt_u32_e64 s9, 63, v0
	v_add_nc_u32_e32 v17, 0xffffff00, v1
	s_barrier_signal -1
	s_barrier_wait -1
	ds_store_b32 v9, v11
	s_wait_dscnt 0x0
	s_barrier_signal -1
	s_barrier_wait -1
	s_and_saveexec_b32 s10, s9
	s_cbranch_execz .LBB54_33
; %bb.30:
	ds_load_b32 v18, v17
	s_mov_b32 s11, exec_lo
	s_wait_dscnt 0x0
	v_cmpx_eq_u32_e64 v8, v18
	s_cbranch_execz .LBB54_32
; %bb.31:
	v_add_nc_u32_e32 v18, 0xffffff00, v9
	ds_load_b32 v18, v18
	s_wait_dscnt 0x0
	v_add_f32_e32 v11, v11, v18
.LBB54_32:
	s_or_b32 exec_lo, exec_lo, s11
.LBB54_33:
	s_delay_alu instid0(SALU_CYCLE_1)
	s_or_b32 exec_lo, exec_lo, s10
	s_load_b64 s[24:25], s[0:1], 0x30
	v_cmp_lt_u32_e64 s10, 0x7f, v0
	v_add_nc_u32_e32 v18, 0xfffffe00, v1
	s_barrier_signal -1
	s_barrier_wait -1
	ds_store_b32 v9, v11
	s_wait_dscnt 0x0
	s_barrier_signal -1
	s_barrier_wait -1
	s_and_saveexec_b32 s11, s10
	s_cbranch_execz .LBB54_37
; %bb.34:
	ds_load_b32 v19, v18
	s_mov_b32 s12, exec_lo
	s_wait_dscnt 0x0
	v_cmpx_eq_u32_e64 v8, v19
	s_cbranch_execz .LBB54_36
; %bb.35:
	v_add_nc_u32_e32 v19, 0xfffffe00, v9
	ds_load_b32 v19, v19
	s_wait_dscnt 0x0
	v_add_f32_e32 v11, v11, v19
.LBB54_36:
	s_or_b32 exec_lo, exec_lo, s12
.LBB54_37:
	s_delay_alu instid0(SALU_CYCLE_1)
	s_or_b32 exec_lo, exec_lo, s11
	v_cmp_gt_u32_e64 s11, 0xff, v0
	s_barrier_signal -1
	s_barrier_wait -1
	ds_store_b32 v9, v11
	s_wait_dscnt 0x0
	s_barrier_signal -1
	s_barrier_wait -1
	s_and_saveexec_b32 s13, s11
	s_cbranch_execz .LBB54_40
; %bb.38:
	ds_load_b32 v19, v1 offset:4
	v_cmp_lt_i32_e64 s12, -1, v8
	s_wait_dscnt 0x0
	v_cmp_ne_u32_e32 vcc_lo, v8, v19
	s_and_b32 s12, s12, vcc_lo
	s_delay_alu instid0(SALU_CYCLE_1)
	s_and_b32 exec_lo, exec_lo, s12
	s_cbranch_execz .LBB54_40
; %bb.39:
	s_wait_kmcnt 0x0
	global_load_b32 v19, v8, s[24:25] scale_offset
	s_wait_loadcnt 0x0
	v_fmac_f32_e32 v19, s20, v11
	global_store_b32 v8, v19, s[24:25] scale_offset
.LBB54_40:
	s_wait_xcnt 0x0
	s_or_b32 exec_lo, exec_lo, s13
	s_load_b128 s[12:15], s[0:1], 0x38
	s_cmp_lt_i32 s18, 2
	s_cbranch_scc1 .LBB54_87
; %bb.41:
	v_add_nc_u64_e32 v[6:7], 0x200, v[6:7]
	v_add_nc_u64_e32 v[4:5], 0x800, v[4:5]
	;; [unrolled: 1-line block ×3, first 2 shown]
	s_ashr_i32 s23, s22, 31
	v_dual_add_nc_u32 v19, -4, v9 :: v_dual_add_nc_u32 v20, -8, v9
	v_dual_add_nc_u32 v21, -16, v9 :: v_dual_mov_b32 v27, 0
	v_subrev_nc_u32_e32 v22, 32, v9
	v_subrev_nc_u32_e32 v23, 64, v9
	v_add_nc_u32_e32 v24, 0xffffff80, v9
	v_add_nc_u32_e32 v25, 0xffffff00, v9
	v_add_nc_u32_e32 v26, 0xfffffe00, v9
	s_wait_xcnt 0x0
	s_lshl_b64 s[0:1], s[22:23], 1
	s_delay_alu instid0(SALU_CYCLE_1)
	s_sub_nc_u64 s[26:27], s[26:27], s[0:1]
	s_add_co_i32 s1, s18, -1
	s_branch .LBB54_43
.LBB54_42:                              ;   in Loop: Header=BB54_43 Depth=1
	s_wait_xcnt 0x0
	s_or_b32 exec_lo, exec_lo, s18
	v_add_nc_u64_e32 v[6:7], 0x200, v[6:7]
	v_add_nc_u64_e32 v[4:5], 0x800, v[4:5]
	;; [unrolled: 1-line block ×3, first 2 shown]
	s_add_co_i32 s1, s1, -1
	s_delay_alu instid0(SALU_CYCLE_1)
	s_cmp_eq_u32 s1, 0
	s_cbranch_scc1 .LBB54_87
.LBB54_43:                              ; =>This Inner Loop Header: Depth=1
	v_dual_mov_b32 v8, -1 :: v_dual_mov_b32 v11, 0
	s_mov_b32 s0, exec_lo
	s_delay_alu instid0(VALU_DEP_2)
	v_cmpx_gt_i64_e64 s[16:17], v[2:3]
	s_cbranch_execz .LBB54_45
; %bb.44:                               ;   in Loop: Header=BB54_43 Depth=1
	global_load_b64 v[28:29], v[4:5], off th:TH_LOAD_NT
	global_load_u16 v8, v[6:7], off
	s_wait_loadcnt 0x1
	global_load_u16 v11, v29, s[26:27] scale_offset
	s_wait_loadcnt 0x1
	s_wait_xcnt 0x0
	v_lshlrev_b32_e32 v29, 16, v8
	v_subrev_nc_u32_e32 v8, s22, v28
	s_wait_loadcnt 0x0
	v_lshlrev_b32_e32 v11, 16, v11
	s_delay_alu instid0(VALU_DEP_1)
	v_mul_f32_e32 v11, v11, v29
.LBB54_45:                              ;   in Loop: Header=BB54_43 Depth=1
	s_or_b32 exec_lo, exec_lo, s0
	s_and_saveexec_b32 s0, s2
	s_cbranch_execz .LBB54_52
; %bb.46:                               ;   in Loop: Header=BB54_43 Depth=1
	ds_load_b32 v28, v27 offset:1020
	s_mov_b32 s18, exec_lo
	s_wait_dscnt 0x0
	v_cmpx_ne_u32_e64 v8, v28
	s_xor_b32 s18, exec_lo, s18
	s_cbranch_execz .LBB54_49
; %bb.47:                               ;   in Loop: Header=BB54_43 Depth=1
	v_cmp_gt_i32_e32 vcc_lo, 0, v28
	s_cbranch_vccnz .LBB54_49
; %bb.48:                               ;   in Loop: Header=BB54_43 Depth=1
	s_wait_kmcnt 0x0
	global_load_b32 v29, v28, s[24:25] scale_offset
	ds_load_b32 v30, v27 offset:2044
	s_wait_loadcnt_dscnt 0x0
	v_fmac_f32_e32 v29, s20, v30
	global_store_b32 v28, v29, s[24:25] scale_offset
.LBB54_49:                              ;   in Loop: Header=BB54_43 Depth=1
	s_wait_xcnt 0x0
	s_and_not1_saveexec_b32 s18, s18
	s_cbranch_execz .LBB54_51
; %bb.50:                               ;   in Loop: Header=BB54_43 Depth=1
	ds_load_b32 v28, v27 offset:2044
	s_wait_dscnt 0x0
	v_add_f32_e32 v11, v11, v28
.LBB54_51:                              ;   in Loop: Header=BB54_43 Depth=1
	s_or_b32 exec_lo, exec_lo, s18
.LBB54_52:                              ;   in Loop: Header=BB54_43 Depth=1
	s_delay_alu instid0(SALU_CYCLE_1)
	s_or_b32 exec_lo, exec_lo, s0
	s_wait_storecnt 0x0
	s_barrier_signal -1
	s_barrier_wait -1
	ds_store_b32 v1, v8
	ds_store_b32 v9, v11
	s_wait_dscnt 0x0
	s_barrier_signal -1
	s_barrier_wait -1
	s_and_saveexec_b32 s0, s3
	s_cbranch_execz .LBB54_56
; %bb.53:                               ;   in Loop: Header=BB54_43 Depth=1
	ds_load_b32 v28, v10
	s_mov_b32 s18, exec_lo
	s_wait_dscnt 0x0
	v_cmpx_eq_u32_e64 v8, v28
	s_cbranch_execz .LBB54_55
; %bb.54:                               ;   in Loop: Header=BB54_43 Depth=1
	ds_load_b32 v28, v19
	s_wait_dscnt 0x0
	v_add_f32_e32 v11, v11, v28
.LBB54_55:                              ;   in Loop: Header=BB54_43 Depth=1
	s_or_b32 exec_lo, exec_lo, s18
.LBB54_56:                              ;   in Loop: Header=BB54_43 Depth=1
	s_delay_alu instid0(SALU_CYCLE_1)
	s_or_b32 exec_lo, exec_lo, s0
	s_barrier_signal -1
	s_barrier_wait -1
	ds_store_b32 v9, v11
	s_wait_dscnt 0x0
	s_barrier_signal -1
	s_barrier_wait -1
	s_and_saveexec_b32 s0, s4
	s_cbranch_execz .LBB54_60
; %bb.57:                               ;   in Loop: Header=BB54_43 Depth=1
	ds_load_b32 v28, v12
	s_mov_b32 s18, exec_lo
	s_wait_dscnt 0x0
	v_cmpx_eq_u32_e64 v8, v28
	s_cbranch_execz .LBB54_59
; %bb.58:                               ;   in Loop: Header=BB54_43 Depth=1
	ds_load_b32 v28, v20
	s_wait_dscnt 0x0
	v_add_f32_e32 v11, v11, v28
.LBB54_59:                              ;   in Loop: Header=BB54_43 Depth=1
	s_or_b32 exec_lo, exec_lo, s18
.LBB54_60:                              ;   in Loop: Header=BB54_43 Depth=1
	s_delay_alu instid0(SALU_CYCLE_1)
	s_or_b32 exec_lo, exec_lo, s0
	s_barrier_signal -1
	s_barrier_wait -1
	;; [unrolled: 23-line block ×8, first 2 shown]
	ds_store_b32 v9, v11
	s_wait_dscnt 0x0
	s_barrier_signal -1
	s_barrier_wait -1
	s_and_saveexec_b32 s18, s11
	s_cbranch_execz .LBB54_42
; %bb.85:                               ;   in Loop: Header=BB54_43 Depth=1
	ds_load_b32 v28, v1 offset:4
	v_cmp_lt_i32_e64 s0, -1, v8
	s_wait_dscnt 0x0
	v_cmp_ne_u32_e32 vcc_lo, v8, v28
	s_and_b32 s0, s0, vcc_lo
	s_delay_alu instid0(SALU_CYCLE_1)
	s_and_b32 exec_lo, exec_lo, s0
	s_cbranch_execz .LBB54_42
; %bb.86:                               ;   in Loop: Header=BB54_43 Depth=1
	s_wait_kmcnt 0x0
	global_load_b32 v28, v8, s[24:25] scale_offset
	s_wait_loadcnt 0x0
	v_fmac_f32_e32 v28, s20, v11
	global_store_b32 v8, v28, s[24:25] scale_offset
	s_branch .LBB54_42
.LBB54_87:
	s_wait_xcnt 0x0
	s_mov_b32 s0, exec_lo
	v_cmpx_eq_u32_e32 0xff, v0
	s_cbranch_execz .LBB54_89
; %bb.88:
	v_dual_mov_b32 v0, s19 :: v_dual_mul_f32 v1, s20, v11
	s_wait_kmcnt 0x0
	s_clause 0x1
	global_store_b32 v0, v8, s[12:13] scale_offset th:TH_STORE_NT
	global_store_b32 v0, v1, s[14:15] scale_offset th:TH_STORE_NT
.LBB54_89:
	s_endpgm
	.section	.rodata,"a",@progbits
	.p2align	6, 0x0
	.amdhsa_kernel _ZN9rocsparseL26coomvn_aos_segmented_loopsILj256Ei18rocsparse_bfloat16S1_ffEEvlT0_NS_24const_host_device_scalarIT4_EEPKS2_PKT1_PKT2_PT3_PS2_PS4_21rocsparse_index_base_b
		.amdhsa_group_segment_fixed_size 2048
		.amdhsa_private_segment_fixed_size 0
		.amdhsa_kernarg_size 80
		.amdhsa_user_sgpr_count 2
		.amdhsa_user_sgpr_dispatch_ptr 0
		.amdhsa_user_sgpr_queue_ptr 0
		.amdhsa_user_sgpr_kernarg_segment_ptr 1
		.amdhsa_user_sgpr_dispatch_id 0
		.amdhsa_user_sgpr_kernarg_preload_length 0
		.amdhsa_user_sgpr_kernarg_preload_offset 0
		.amdhsa_user_sgpr_private_segment_size 0
		.amdhsa_wavefront_size32 1
		.amdhsa_uses_dynamic_stack 0
		.amdhsa_enable_private_segment 0
		.amdhsa_system_sgpr_workgroup_id_x 1
		.amdhsa_system_sgpr_workgroup_id_y 0
		.amdhsa_system_sgpr_workgroup_id_z 0
		.amdhsa_system_sgpr_workgroup_info 0
		.amdhsa_system_vgpr_workitem_id 0
		.amdhsa_next_free_vgpr 31
		.amdhsa_next_free_sgpr 28
		.amdhsa_named_barrier_count 0
		.amdhsa_reserve_vcc 1
		.amdhsa_float_round_mode_32 0
		.amdhsa_float_round_mode_16_64 0
		.amdhsa_float_denorm_mode_32 3
		.amdhsa_float_denorm_mode_16_64 3
		.amdhsa_fp16_overflow 0
		.amdhsa_memory_ordered 1
		.amdhsa_forward_progress 1
		.amdhsa_inst_pref_size 22
		.amdhsa_round_robin_scheduling 0
		.amdhsa_exception_fp_ieee_invalid_op 0
		.amdhsa_exception_fp_denorm_src 0
		.amdhsa_exception_fp_ieee_div_zero 0
		.amdhsa_exception_fp_ieee_overflow 0
		.amdhsa_exception_fp_ieee_underflow 0
		.amdhsa_exception_fp_ieee_inexact 0
		.amdhsa_exception_int_div_zero 0
	.end_amdhsa_kernel
	.section	.text._ZN9rocsparseL26coomvn_aos_segmented_loopsILj256Ei18rocsparse_bfloat16S1_ffEEvlT0_NS_24const_host_device_scalarIT4_EEPKS2_PKT1_PKT2_PT3_PS2_PS4_21rocsparse_index_base_b,"axG",@progbits,_ZN9rocsparseL26coomvn_aos_segmented_loopsILj256Ei18rocsparse_bfloat16S1_ffEEvlT0_NS_24const_host_device_scalarIT4_EEPKS2_PKT1_PKT2_PT3_PS2_PS4_21rocsparse_index_base_b,comdat
.Lfunc_end54:
	.size	_ZN9rocsparseL26coomvn_aos_segmented_loopsILj256Ei18rocsparse_bfloat16S1_ffEEvlT0_NS_24const_host_device_scalarIT4_EEPKS2_PKT1_PKT2_PT3_PS2_PS4_21rocsparse_index_base_b, .Lfunc_end54-_ZN9rocsparseL26coomvn_aos_segmented_loopsILj256Ei18rocsparse_bfloat16S1_ffEEvlT0_NS_24const_host_device_scalarIT4_EEPKS2_PKT1_PKT2_PT3_PS2_PS4_21rocsparse_index_base_b
                                        ; -- End function
	.set _ZN9rocsparseL26coomvn_aos_segmented_loopsILj256Ei18rocsparse_bfloat16S1_ffEEvlT0_NS_24const_host_device_scalarIT4_EEPKS2_PKT1_PKT2_PT3_PS2_PS4_21rocsparse_index_base_b.num_vgpr, 31
	.set _ZN9rocsparseL26coomvn_aos_segmented_loopsILj256Ei18rocsparse_bfloat16S1_ffEEvlT0_NS_24const_host_device_scalarIT4_EEPKS2_PKT1_PKT2_PT3_PS2_PS4_21rocsparse_index_base_b.num_agpr, 0
	.set _ZN9rocsparseL26coomvn_aos_segmented_loopsILj256Ei18rocsparse_bfloat16S1_ffEEvlT0_NS_24const_host_device_scalarIT4_EEPKS2_PKT1_PKT2_PT3_PS2_PS4_21rocsparse_index_base_b.numbered_sgpr, 28
	.set _ZN9rocsparseL26coomvn_aos_segmented_loopsILj256Ei18rocsparse_bfloat16S1_ffEEvlT0_NS_24const_host_device_scalarIT4_EEPKS2_PKT1_PKT2_PT3_PS2_PS4_21rocsparse_index_base_b.num_named_barrier, 0
	.set _ZN9rocsparseL26coomvn_aos_segmented_loopsILj256Ei18rocsparse_bfloat16S1_ffEEvlT0_NS_24const_host_device_scalarIT4_EEPKS2_PKT1_PKT2_PT3_PS2_PS4_21rocsparse_index_base_b.private_seg_size, 0
	.set _ZN9rocsparseL26coomvn_aos_segmented_loopsILj256Ei18rocsparse_bfloat16S1_ffEEvlT0_NS_24const_host_device_scalarIT4_EEPKS2_PKT1_PKT2_PT3_PS2_PS4_21rocsparse_index_base_b.uses_vcc, 1
	.set _ZN9rocsparseL26coomvn_aos_segmented_loopsILj256Ei18rocsparse_bfloat16S1_ffEEvlT0_NS_24const_host_device_scalarIT4_EEPKS2_PKT1_PKT2_PT3_PS2_PS4_21rocsparse_index_base_b.uses_flat_scratch, 0
	.set _ZN9rocsparseL26coomvn_aos_segmented_loopsILj256Ei18rocsparse_bfloat16S1_ffEEvlT0_NS_24const_host_device_scalarIT4_EEPKS2_PKT1_PKT2_PT3_PS2_PS4_21rocsparse_index_base_b.has_dyn_sized_stack, 0
	.set _ZN9rocsparseL26coomvn_aos_segmented_loopsILj256Ei18rocsparse_bfloat16S1_ffEEvlT0_NS_24const_host_device_scalarIT4_EEPKS2_PKT1_PKT2_PT3_PS2_PS4_21rocsparse_index_base_b.has_recursion, 0
	.set _ZN9rocsparseL26coomvn_aos_segmented_loopsILj256Ei18rocsparse_bfloat16S1_ffEEvlT0_NS_24const_host_device_scalarIT4_EEPKS2_PKT1_PKT2_PT3_PS2_PS4_21rocsparse_index_base_b.has_indirect_call, 0
	.section	.AMDGPU.csdata,"",@progbits
; Kernel info:
; codeLenInByte = 2692
; TotalNumSgprs: 30
; NumVgprs: 31
; ScratchSize: 0
; MemoryBound: 0
; FloatMode: 240
; IeeeMode: 1
; LDSByteSize: 2048 bytes/workgroup (compile time only)
; SGPRBlocks: 0
; VGPRBlocks: 1
; NumSGPRsForWavesPerEU: 30
; NumVGPRsForWavesPerEU: 31
; NamedBarCnt: 0
; Occupancy: 16
; WaveLimiterHint : 1
; COMPUTE_PGM_RSRC2:SCRATCH_EN: 0
; COMPUTE_PGM_RSRC2:USER_SGPR: 2
; COMPUTE_PGM_RSRC2:TRAP_HANDLER: 0
; COMPUTE_PGM_RSRC2:TGID_X_EN: 1
; COMPUTE_PGM_RSRC2:TGID_Y_EN: 0
; COMPUTE_PGM_RSRC2:TGID_Z_EN: 0
; COMPUTE_PGM_RSRC2:TIDIG_COMP_CNT: 0
	.section	.text._ZN9rocsparseL23coomvn_aos_atomic_loopsILj256ELj1El18rocsparse_bfloat16S1_ffEEvlNS_24const_host_device_scalarIT5_EEPKT1_PKT2_PKT3_PT4_21rocsparse_index_base_b,"axG",@progbits,_ZN9rocsparseL23coomvn_aos_atomic_loopsILj256ELj1El18rocsparse_bfloat16S1_ffEEvlNS_24const_host_device_scalarIT5_EEPKT1_PKT2_PKT3_PT4_21rocsparse_index_base_b,comdat
	.globl	_ZN9rocsparseL23coomvn_aos_atomic_loopsILj256ELj1El18rocsparse_bfloat16S1_ffEEvlNS_24const_host_device_scalarIT5_EEPKT1_PKT2_PKT3_PT4_21rocsparse_index_base_b ; -- Begin function _ZN9rocsparseL23coomvn_aos_atomic_loopsILj256ELj1El18rocsparse_bfloat16S1_ffEEvlNS_24const_host_device_scalarIT5_EEPKT1_PKT2_PKT3_PT4_21rocsparse_index_base_b
	.p2align	8
	.type	_ZN9rocsparseL23coomvn_aos_atomic_loopsILj256ELj1El18rocsparse_bfloat16S1_ffEEvlNS_24const_host_device_scalarIT5_EEPKT1_PKT2_PKT3_PT4_21rocsparse_index_base_b,@function
_ZN9rocsparseL23coomvn_aos_atomic_loopsILj256ELj1El18rocsparse_bfloat16S1_ffEEvlNS_24const_host_device_scalarIT5_EEPKT1_PKT2_PKT3_PT4_21rocsparse_index_base_b: ; @_ZN9rocsparseL23coomvn_aos_atomic_loopsILj256ELj1El18rocsparse_bfloat16S1_ffEEvlNS_24const_host_device_scalarIT5_EEPKT1_PKT2_PKT3_PT4_21rocsparse_index_base_b
; %bb.0:
	s_clause 0x1
	s_load_b64 s[2:3], s[0:1], 0x30
	s_load_b128 s[4:7], s[0:1], 0x0
	s_wait_kmcnt 0x0
	s_bitcmp1_b32 s3, 0
	s_cselect_b32 s3, -1, 0
	s_delay_alu instid0(SALU_CYCLE_1)
	s_and_b32 vcc_lo, exec_lo, s3
	s_cbranch_vccnz .LBB55_2
; %bb.1:
	s_load_b32 s6, s[6:7], 0x0
.LBB55_2:
	s_wait_kmcnt 0x0
	s_cmp_eq_f32 s6, 0
	s_cbranch_scc1 .LBB55_42
; %bb.3:
	s_bfe_u32 s3, ttmp6, 0x4000c
	s_and_b32 s7, ttmp6, 15
	s_add_co_i32 s3, s3, 1
	s_getreg_b32 s8, hwreg(HW_REG_IB_STS2, 6, 4)
	s_mul_i32 s3, ttmp9, s3
	v_mov_b32_e32 v3, 0
	s_add_co_i32 s7, s7, s3
	s_cmp_eq_u32 s8, 0
	v_mov_b64_e32 v[4:5], -1
	s_cselect_b32 s3, ttmp9, s7
	s_delay_alu instid0(SALU_CYCLE_1) | instskip(NEXT) | instid1(VALU_DEP_1)
	v_lshl_or_b32 v2, s3, 8, v0
	v_cmp_gt_i64_e32 vcc_lo, s[4:5], v[2:3]
	s_and_saveexec_b32 s4, vcc_lo
	s_cbranch_execz .LBB55_5
; %bb.4:
	s_clause 0x1
	s_load_b128 s[8:11], s[0:1], 0x10
	s_load_b64 s[12:13], s[0:1], 0x20
	s_mov_b32 s3, 0
	s_wait_kmcnt 0x0
	v_lshl_add_u64 v[4:5], v[2:3], 4, s[8:9]
	v_lshl_add_u64 v[2:3], v[2:3], 1, s[10:11]
	global_load_b128 v[4:7], v[4:5], off th:TH_LOAD_NT
	s_wait_loadcnt 0x0
	v_sub_nc_u64_e64 v[6:7], v[6:7], s[2:3]
	v_sub_nc_u64_e64 v[4:5], v[4:5], s[2:3]
	s_delay_alu instid0(VALU_DEP_2) | instskip(SKIP_4) | instid1(VALU_DEP_1)
	v_lshl_add_u64 v[6:7], v[6:7], 1, s[12:13]
	global_load_u16 v1, v[6:7], off
	global_load_u16 v8, v[2:3], off
	s_wait_loadcnt 0x0
	v_dual_lshlrev_b32 v1, 16, v1 :: v_dual_lshlrev_b32 v2, 16, v8
	v_mul_f32_e32 v3, v1, v2
.LBB55_5:
	s_or_b32 exec_lo, exec_lo, s4
	v_dual_lshlrev_b32 v6, 2, v0 :: v_dual_lshlrev_b32 v1, 3, v0
	s_mov_b32 s2, exec_lo
	ds_store_b64 v1, v[4:5]
	ds_store_b32 v6, v3 offset:2048
	v_or_b32_e32 v2, 0x800, v6
	s_wait_dscnt 0x0
	s_barrier_signal -1
	s_barrier_wait -1
	v_cmpx_ne_u32_e32 0, v0
	s_cbranch_execz .LBB55_9
; %bb.6:
	v_add_nc_u32_e32 v6, -8, v1
	s_mov_b32 s3, exec_lo
	ds_load_b64 v[6:7], v6
	s_wait_dscnt 0x0
	v_cmpx_eq_u64_e64 v[4:5], v[6:7]
	s_cbranch_execz .LBB55_8
; %bb.7:
	v_add_nc_u32_e32 v6, -4, v2
	ds_load_b32 v6, v6
	s_wait_dscnt 0x0
	v_add_f32_e32 v3, v3, v6
.LBB55_8:
	s_or_b32 exec_lo, exec_lo, s3
.LBB55_9:
	s_delay_alu instid0(SALU_CYCLE_1) | instskip(NEXT) | instid1(SALU_CYCLE_1)
	s_or_b32 exec_lo, exec_lo, s2
	s_mov_b32 s2, exec_lo
	s_barrier_signal -1
	s_barrier_wait -1
	ds_store_b32 v2, v3
	s_wait_dscnt 0x0
	s_barrier_signal -1
	s_barrier_wait -1
	v_cmpx_lt_u32_e32 1, v0
	s_cbranch_execz .LBB55_13
; %bb.10:
	v_add_nc_u32_e32 v6, -16, v1
	s_mov_b32 s3, exec_lo
	ds_load_b64 v[6:7], v6
	s_wait_dscnt 0x0
	v_cmpx_eq_u64_e64 v[4:5], v[6:7]
	s_cbranch_execz .LBB55_12
; %bb.11:
	v_add_nc_u32_e32 v6, -8, v2
	ds_load_b32 v6, v6
	s_wait_dscnt 0x0
	v_add_f32_e32 v3, v3, v6
.LBB55_12:
	s_or_b32 exec_lo, exec_lo, s3
.LBB55_13:
	s_delay_alu instid0(SALU_CYCLE_1) | instskip(NEXT) | instid1(SALU_CYCLE_1)
	s_or_b32 exec_lo, exec_lo, s2
	s_mov_b32 s2, exec_lo
	s_barrier_signal -1
	s_barrier_wait -1
	ds_store_b32 v2, v3
	s_wait_dscnt 0x0
	s_barrier_signal -1
	s_barrier_wait -1
	v_cmpx_lt_u32_e32 3, v0
	s_cbranch_execz .LBB55_17
; %bb.14:
	v_subrev_nc_u32_e32 v6, 32, v1
	s_mov_b32 s3, exec_lo
	ds_load_b64 v[6:7], v6
	s_wait_dscnt 0x0
	v_cmpx_eq_u64_e64 v[4:5], v[6:7]
	s_cbranch_execz .LBB55_16
; %bb.15:
	v_add_nc_u32_e32 v6, -16, v2
	ds_load_b32 v6, v6
	s_wait_dscnt 0x0
	v_add_f32_e32 v3, v3, v6
.LBB55_16:
	s_or_b32 exec_lo, exec_lo, s3
.LBB55_17:
	s_delay_alu instid0(SALU_CYCLE_1) | instskip(NEXT) | instid1(SALU_CYCLE_1)
	s_or_b32 exec_lo, exec_lo, s2
	s_mov_b32 s2, exec_lo
	s_barrier_signal -1
	s_barrier_wait -1
	ds_store_b32 v2, v3
	s_wait_dscnt 0x0
	s_barrier_signal -1
	s_barrier_wait -1
	v_cmpx_lt_u32_e32 7, v0
	s_cbranch_execz .LBB55_21
; %bb.18:
	v_subrev_nc_u32_e32 v6, 64, v1
	s_mov_b32 s3, exec_lo
	ds_load_b64 v[6:7], v6
	s_wait_dscnt 0x0
	v_cmpx_eq_u64_e64 v[4:5], v[6:7]
	s_cbranch_execz .LBB55_20
; %bb.19:
	v_subrev_nc_u32_e32 v6, 32, v2
	ds_load_b32 v6, v6
	s_wait_dscnt 0x0
	v_add_f32_e32 v3, v3, v6
.LBB55_20:
	s_or_b32 exec_lo, exec_lo, s3
.LBB55_21:
	s_delay_alu instid0(SALU_CYCLE_1) | instskip(NEXT) | instid1(SALU_CYCLE_1)
	s_or_b32 exec_lo, exec_lo, s2
	s_mov_b32 s2, exec_lo
	s_barrier_signal -1
	s_barrier_wait -1
	ds_store_b32 v2, v3
	s_wait_dscnt 0x0
	s_barrier_signal -1
	s_barrier_wait -1
	v_cmpx_lt_u32_e32 15, v0
	s_cbranch_execz .LBB55_25
; %bb.22:
	v_add_nc_u32_e32 v6, 0xffffff80, v1
	s_mov_b32 s3, exec_lo
	ds_load_b64 v[6:7], v6
	s_wait_dscnt 0x0
	v_cmpx_eq_u64_e64 v[4:5], v[6:7]
	s_cbranch_execz .LBB55_24
; %bb.23:
	v_subrev_nc_u32_e32 v6, 64, v2
	ds_load_b32 v6, v6
	s_wait_dscnt 0x0
	v_add_f32_e32 v3, v3, v6
.LBB55_24:
	s_or_b32 exec_lo, exec_lo, s3
.LBB55_25:
	s_delay_alu instid0(SALU_CYCLE_1) | instskip(NEXT) | instid1(SALU_CYCLE_1)
	s_or_b32 exec_lo, exec_lo, s2
	s_mov_b32 s2, exec_lo
	s_barrier_signal -1
	s_barrier_wait -1
	ds_store_b32 v2, v3
	s_wait_dscnt 0x0
	s_barrier_signal -1
	s_barrier_wait -1
	v_cmpx_lt_u32_e32 31, v0
	s_cbranch_execz .LBB55_29
; %bb.26:
	v_add_nc_u32_e32 v6, 0xffffff00, v1
	s_mov_b32 s3, exec_lo
	ds_load_b64 v[6:7], v6
	s_wait_dscnt 0x0
	v_cmpx_eq_u64_e64 v[4:5], v[6:7]
	s_cbranch_execz .LBB55_28
; %bb.27:
	v_add_nc_u32_e32 v6, 0xffffff80, v2
	ds_load_b32 v6, v6
	s_wait_dscnt 0x0
	v_add_f32_e32 v3, v3, v6
.LBB55_28:
	s_or_b32 exec_lo, exec_lo, s3
.LBB55_29:
	s_delay_alu instid0(SALU_CYCLE_1) | instskip(NEXT) | instid1(SALU_CYCLE_1)
	s_or_b32 exec_lo, exec_lo, s2
	s_mov_b32 s2, exec_lo
	s_barrier_signal -1
	s_barrier_wait -1
	ds_store_b32 v2, v3
	s_wait_dscnt 0x0
	s_barrier_signal -1
	s_barrier_wait -1
	v_cmpx_lt_u32_e32 63, v0
	s_cbranch_execz .LBB55_33
; %bb.30:
	v_add_nc_u32_e32 v6, 0xfffffe00, v1
	s_mov_b32 s3, exec_lo
	ds_load_b64 v[6:7], v6
	s_wait_dscnt 0x0
	v_cmpx_eq_u64_e64 v[4:5], v[6:7]
	s_cbranch_execz .LBB55_32
; %bb.31:
	v_add_nc_u32_e32 v6, 0xffffff00, v2
	ds_load_b32 v6, v6
	s_wait_dscnt 0x0
	v_add_f32_e32 v3, v3, v6
.LBB55_32:
	s_or_b32 exec_lo, exec_lo, s3
.LBB55_33:
	;; [unrolled: 26-line block ×3, first 2 shown]
	s_delay_alu instid0(SALU_CYCLE_1)
	s_or_b32 exec_lo, exec_lo, s2
	s_load_b64 s[2:3], s[0:1], 0x28
	s_wait_xcnt 0x0
	s_mov_b32 s1, exec_lo
	s_barrier_signal -1
	s_barrier_wait -1
	ds_store_b32 v2, v3
	s_wait_dscnt 0x0
	s_barrier_signal -1
	s_barrier_wait -1
	v_cmpx_gt_u32_e32 0xff, v0
	s_cbranch_execz .LBB55_40
; %bb.38:
	ds_load_b64 v[6:7], v1 offset:8
	v_cmp_lt_i64_e64 s0, -1, v[4:5]
	s_wait_dscnt 0x0
	v_cmp_ne_u64_e32 vcc_lo, v[4:5], v[6:7]
	s_and_b32 s0, s0, vcc_lo
	s_delay_alu instid0(SALU_CYCLE_1)
	s_and_b32 exec_lo, exec_lo, s0
	s_cbranch_execz .LBB55_40
; %bb.39:
	s_wait_kmcnt 0x0
	v_lshl_add_u64 v[6:7], v[4:5], 2, s[2:3]
	v_mul_f32_e32 v1, s6, v3
	global_atomic_add_f32 v[6:7], v1, off scope:SCOPE_DEV
.LBB55_40:
	s_wait_xcnt 0x0
	s_or_b32 exec_lo, exec_lo, s1
	v_cmp_lt_i64_e32 vcc_lo, -1, v[4:5]
	v_cmp_eq_u32_e64 s0, 0xff, v0
	s_and_b32 s0, s0, vcc_lo
	s_delay_alu instid0(SALU_CYCLE_1)
	s_and_saveexec_b32 s1, s0
	s_cbranch_execz .LBB55_42
; %bb.41:
	s_wait_kmcnt 0x0
	v_lshl_add_u64 v[0:1], v[4:5], 2, s[2:3]
	v_mul_f32_e32 v2, s6, v3
	global_atomic_add_f32 v[0:1], v2, off scope:SCOPE_DEV
.LBB55_42:
	s_endpgm
	.section	.rodata,"a",@progbits
	.p2align	6, 0x0
	.amdhsa_kernel _ZN9rocsparseL23coomvn_aos_atomic_loopsILj256ELj1El18rocsparse_bfloat16S1_ffEEvlNS_24const_host_device_scalarIT5_EEPKT1_PKT2_PKT3_PT4_21rocsparse_index_base_b
		.amdhsa_group_segment_fixed_size 3072
		.amdhsa_private_segment_fixed_size 0
		.amdhsa_kernarg_size 56
		.amdhsa_user_sgpr_count 2
		.amdhsa_user_sgpr_dispatch_ptr 0
		.amdhsa_user_sgpr_queue_ptr 0
		.amdhsa_user_sgpr_kernarg_segment_ptr 1
		.amdhsa_user_sgpr_dispatch_id 0
		.amdhsa_user_sgpr_kernarg_preload_length 0
		.amdhsa_user_sgpr_kernarg_preload_offset 0
		.amdhsa_user_sgpr_private_segment_size 0
		.amdhsa_wavefront_size32 1
		.amdhsa_uses_dynamic_stack 0
		.amdhsa_enable_private_segment 0
		.amdhsa_system_sgpr_workgroup_id_x 1
		.amdhsa_system_sgpr_workgroup_id_y 0
		.amdhsa_system_sgpr_workgroup_id_z 0
		.amdhsa_system_sgpr_workgroup_info 0
		.amdhsa_system_vgpr_workitem_id 0
		.amdhsa_next_free_vgpr 9
		.amdhsa_next_free_sgpr 14
		.amdhsa_named_barrier_count 0
		.amdhsa_reserve_vcc 1
		.amdhsa_float_round_mode_32 0
		.amdhsa_float_round_mode_16_64 0
		.amdhsa_float_denorm_mode_32 3
		.amdhsa_float_denorm_mode_16_64 3
		.amdhsa_fp16_overflow 0
		.amdhsa_memory_ordered 1
		.amdhsa_forward_progress 1
		.amdhsa_inst_pref_size 11
		.amdhsa_round_robin_scheduling 0
		.amdhsa_exception_fp_ieee_invalid_op 0
		.amdhsa_exception_fp_denorm_src 0
		.amdhsa_exception_fp_ieee_div_zero 0
		.amdhsa_exception_fp_ieee_overflow 0
		.amdhsa_exception_fp_ieee_underflow 0
		.amdhsa_exception_fp_ieee_inexact 0
		.amdhsa_exception_int_div_zero 0
	.end_amdhsa_kernel
	.section	.text._ZN9rocsparseL23coomvn_aos_atomic_loopsILj256ELj1El18rocsparse_bfloat16S1_ffEEvlNS_24const_host_device_scalarIT5_EEPKT1_PKT2_PKT3_PT4_21rocsparse_index_base_b,"axG",@progbits,_ZN9rocsparseL23coomvn_aos_atomic_loopsILj256ELj1El18rocsparse_bfloat16S1_ffEEvlNS_24const_host_device_scalarIT5_EEPKT1_PKT2_PKT3_PT4_21rocsparse_index_base_b,comdat
.Lfunc_end55:
	.size	_ZN9rocsparseL23coomvn_aos_atomic_loopsILj256ELj1El18rocsparse_bfloat16S1_ffEEvlNS_24const_host_device_scalarIT5_EEPKT1_PKT2_PKT3_PT4_21rocsparse_index_base_b, .Lfunc_end55-_ZN9rocsparseL23coomvn_aos_atomic_loopsILj256ELj1El18rocsparse_bfloat16S1_ffEEvlNS_24const_host_device_scalarIT5_EEPKT1_PKT2_PKT3_PT4_21rocsparse_index_base_b
                                        ; -- End function
	.set _ZN9rocsparseL23coomvn_aos_atomic_loopsILj256ELj1El18rocsparse_bfloat16S1_ffEEvlNS_24const_host_device_scalarIT5_EEPKT1_PKT2_PKT3_PT4_21rocsparse_index_base_b.num_vgpr, 9
	.set _ZN9rocsparseL23coomvn_aos_atomic_loopsILj256ELj1El18rocsparse_bfloat16S1_ffEEvlNS_24const_host_device_scalarIT5_EEPKT1_PKT2_PKT3_PT4_21rocsparse_index_base_b.num_agpr, 0
	.set _ZN9rocsparseL23coomvn_aos_atomic_loopsILj256ELj1El18rocsparse_bfloat16S1_ffEEvlNS_24const_host_device_scalarIT5_EEPKT1_PKT2_PKT3_PT4_21rocsparse_index_base_b.numbered_sgpr, 14
	.set _ZN9rocsparseL23coomvn_aos_atomic_loopsILj256ELj1El18rocsparse_bfloat16S1_ffEEvlNS_24const_host_device_scalarIT5_EEPKT1_PKT2_PKT3_PT4_21rocsparse_index_base_b.num_named_barrier, 0
	.set _ZN9rocsparseL23coomvn_aos_atomic_loopsILj256ELj1El18rocsparse_bfloat16S1_ffEEvlNS_24const_host_device_scalarIT5_EEPKT1_PKT2_PKT3_PT4_21rocsparse_index_base_b.private_seg_size, 0
	.set _ZN9rocsparseL23coomvn_aos_atomic_loopsILj256ELj1El18rocsparse_bfloat16S1_ffEEvlNS_24const_host_device_scalarIT5_EEPKT1_PKT2_PKT3_PT4_21rocsparse_index_base_b.uses_vcc, 1
	.set _ZN9rocsparseL23coomvn_aos_atomic_loopsILj256ELj1El18rocsparse_bfloat16S1_ffEEvlNS_24const_host_device_scalarIT5_EEPKT1_PKT2_PKT3_PT4_21rocsparse_index_base_b.uses_flat_scratch, 0
	.set _ZN9rocsparseL23coomvn_aos_atomic_loopsILj256ELj1El18rocsparse_bfloat16S1_ffEEvlNS_24const_host_device_scalarIT5_EEPKT1_PKT2_PKT3_PT4_21rocsparse_index_base_b.has_dyn_sized_stack, 0
	.set _ZN9rocsparseL23coomvn_aos_atomic_loopsILj256ELj1El18rocsparse_bfloat16S1_ffEEvlNS_24const_host_device_scalarIT5_EEPKT1_PKT2_PKT3_PT4_21rocsparse_index_base_b.has_recursion, 0
	.set _ZN9rocsparseL23coomvn_aos_atomic_loopsILj256ELj1El18rocsparse_bfloat16S1_ffEEvlNS_24const_host_device_scalarIT5_EEPKT1_PKT2_PKT3_PT4_21rocsparse_index_base_b.has_indirect_call, 0
	.section	.AMDGPU.csdata,"",@progbits
; Kernel info:
; codeLenInByte = 1348
; TotalNumSgprs: 16
; NumVgprs: 9
; ScratchSize: 0
; MemoryBound: 0
; FloatMode: 240
; IeeeMode: 1
; LDSByteSize: 3072 bytes/workgroup (compile time only)
; SGPRBlocks: 0
; VGPRBlocks: 0
; NumSGPRsForWavesPerEU: 16
; NumVGPRsForWavesPerEU: 9
; NamedBarCnt: 0
; Occupancy: 16
; WaveLimiterHint : 1
; COMPUTE_PGM_RSRC2:SCRATCH_EN: 0
; COMPUTE_PGM_RSRC2:USER_SGPR: 2
; COMPUTE_PGM_RSRC2:TRAP_HANDLER: 0
; COMPUTE_PGM_RSRC2:TGID_X_EN: 1
; COMPUTE_PGM_RSRC2:TGID_Y_EN: 0
; COMPUTE_PGM_RSRC2:TGID_Z_EN: 0
; COMPUTE_PGM_RSRC2:TIDIG_COMP_CNT: 0
	.section	.text._ZN9rocsparseL17coomvt_aos_kernelILj1024El18rocsparse_bfloat16S1_ffEEv20rocsparse_operation_lNS_24const_host_device_scalarIT4_EEPKT0_PKT1_PKT2_PT3_21rocsparse_index_base_b,"axG",@progbits,_ZN9rocsparseL17coomvt_aos_kernelILj1024El18rocsparse_bfloat16S1_ffEEv20rocsparse_operation_lNS_24const_host_device_scalarIT4_EEPKT0_PKT1_PKT2_PT3_21rocsparse_index_base_b,comdat
	.globl	_ZN9rocsparseL17coomvt_aos_kernelILj1024El18rocsparse_bfloat16S1_ffEEv20rocsparse_operation_lNS_24const_host_device_scalarIT4_EEPKT0_PKT1_PKT2_PT3_21rocsparse_index_base_b ; -- Begin function _ZN9rocsparseL17coomvt_aos_kernelILj1024El18rocsparse_bfloat16S1_ffEEv20rocsparse_operation_lNS_24const_host_device_scalarIT4_EEPKT0_PKT1_PKT2_PT3_21rocsparse_index_base_b
	.p2align	8
	.type	_ZN9rocsparseL17coomvt_aos_kernelILj1024El18rocsparse_bfloat16S1_ffEEv20rocsparse_operation_lNS_24const_host_device_scalarIT4_EEPKT0_PKT1_PKT2_PT3_21rocsparse_index_base_b,@function
_ZN9rocsparseL17coomvt_aos_kernelILj1024El18rocsparse_bfloat16S1_ffEEv20rocsparse_operation_lNS_24const_host_device_scalarIT4_EEPKT0_PKT1_PKT2_PT3_21rocsparse_index_base_b: ; @_ZN9rocsparseL17coomvt_aos_kernelILj1024El18rocsparse_bfloat16S1_ffEEv20rocsparse_operation_lNS_24const_host_device_scalarIT4_EEPKT0_PKT1_PKT2_PT3_21rocsparse_index_base_b
; %bb.0:
	s_clause 0x1
	s_load_b64 s[2:3], s[0:1], 0x38
	s_load_b128 s[4:7], s[0:1], 0x8
	s_wait_kmcnt 0x0
	s_bitcmp1_b32 s3, 0
	s_cselect_b32 s3, -1, 0
	s_delay_alu instid0(SALU_CYCLE_1)
	s_and_b32 vcc_lo, exec_lo, s3
	s_cbranch_vccnz .LBB56_2
; %bb.1:
	s_load_b32 s6, s[6:7], 0x0
.LBB56_2:
	s_wait_kmcnt 0x0
	s_cmp_eq_f32 s6, 0
	s_cbranch_scc1 .LBB56_5
; %bb.3:
	s_load_b32 s3, s[0:1], 0x4c
	s_bfe_u32 s7, ttmp6, 0x4000c
	s_and_b32 s8, ttmp6, 15
	s_add_co_i32 s7, s7, 1
	s_getreg_b32 s9, hwreg(HW_REG_IB_STS2, 6, 4)
	s_mul_i32 s7, ttmp9, s7
	v_mov_b32_e32 v1, 0
	s_add_co_i32 s8, s8, s7
	s_wait_kmcnt 0x0
	s_and_b32 s3, s3, 0xffff
	s_cmp_eq_u32 s9, 0
	s_cselect_b32 s7, ttmp9, s8
	s_delay_alu instid0(SALU_CYCLE_1) | instskip(SKIP_1) | instid1(VALU_DEP_1)
	v_mad_u32 v0, s7, s3, v0
	s_mov_b32 s3, exec_lo
	v_cmpx_gt_i64_e64 s[4:5], v[0:1]
	s_cbranch_execz .LBB56_5
; %bb.4:
	s_load_b256 s[8:15], s[0:1], 0x18
	s_mov_b32 s3, 0
	s_wait_kmcnt 0x0
	v_lshl_add_u64 v[2:3], v[0:1], 4, s[8:9]
	v_lshl_add_u64 v[0:1], v[0:1], 1, s[10:11]
	global_load_b128 v[2:5], v[2:3], off
	global_load_u16 v6, v[0:1], off
	s_wait_loadcnt 0x1
	s_wait_xcnt 0x1
	v_sub_nc_u64_e64 v[2:3], v[2:3], s[2:3]
	s_wait_xcnt 0x0
	s_delay_alu instid0(VALU_DEP_1)
	v_lshl_add_u64 v[0:1], v[2:3], 1, s[12:13]
	s_wait_loadcnt 0x0
	v_lshlrev_b32_e32 v3, 16, v6
	global_load_u16 v2, v[0:1], off
	s_wait_xcnt 0x0
	v_sub_nc_u64_e64 v[0:1], v[4:5], s[2:3]
	v_mul_f32_e32 v3, s6, v3
	s_delay_alu instid0(VALU_DEP_2) | instskip(SKIP_2) | instid1(VALU_DEP_1)
	v_lshl_add_u64 v[0:1], v[0:1], 2, s[14:15]
	s_wait_loadcnt 0x0
	v_lshlrev_b32_e32 v2, 16, v2
	v_mul_f32_e32 v2, v3, v2
	global_atomic_add_f32 v[0:1], v2, off scope:SCOPE_DEV
.LBB56_5:
	s_endpgm
	.section	.rodata,"a",@progbits
	.p2align	6, 0x0
	.amdhsa_kernel _ZN9rocsparseL17coomvt_aos_kernelILj1024El18rocsparse_bfloat16S1_ffEEv20rocsparse_operation_lNS_24const_host_device_scalarIT4_EEPKT0_PKT1_PKT2_PT3_21rocsparse_index_base_b
		.amdhsa_group_segment_fixed_size 0
		.amdhsa_private_segment_fixed_size 0
		.amdhsa_kernarg_size 320
		.amdhsa_user_sgpr_count 2
		.amdhsa_user_sgpr_dispatch_ptr 0
		.amdhsa_user_sgpr_queue_ptr 0
		.amdhsa_user_sgpr_kernarg_segment_ptr 1
		.amdhsa_user_sgpr_dispatch_id 0
		.amdhsa_user_sgpr_kernarg_preload_length 0
		.amdhsa_user_sgpr_kernarg_preload_offset 0
		.amdhsa_user_sgpr_private_segment_size 0
		.amdhsa_wavefront_size32 1
		.amdhsa_uses_dynamic_stack 0
		.amdhsa_enable_private_segment 0
		.amdhsa_system_sgpr_workgroup_id_x 1
		.amdhsa_system_sgpr_workgroup_id_y 0
		.amdhsa_system_sgpr_workgroup_id_z 0
		.amdhsa_system_sgpr_workgroup_info 0
		.amdhsa_system_vgpr_workitem_id 0
		.amdhsa_next_free_vgpr 7
		.amdhsa_next_free_sgpr 16
		.amdhsa_named_barrier_count 0
		.amdhsa_reserve_vcc 1
		.amdhsa_float_round_mode_32 0
		.amdhsa_float_round_mode_16_64 0
		.amdhsa_float_denorm_mode_32 3
		.amdhsa_float_denorm_mode_16_64 3
		.amdhsa_fp16_overflow 0
		.amdhsa_memory_ordered 1
		.amdhsa_forward_progress 1
		.amdhsa_inst_pref_size 3
		.amdhsa_round_robin_scheduling 0
		.amdhsa_exception_fp_ieee_invalid_op 0
		.amdhsa_exception_fp_denorm_src 0
		.amdhsa_exception_fp_ieee_div_zero 0
		.amdhsa_exception_fp_ieee_overflow 0
		.amdhsa_exception_fp_ieee_underflow 0
		.amdhsa_exception_fp_ieee_inexact 0
		.amdhsa_exception_int_div_zero 0
	.end_amdhsa_kernel
	.section	.text._ZN9rocsparseL17coomvt_aos_kernelILj1024El18rocsparse_bfloat16S1_ffEEv20rocsparse_operation_lNS_24const_host_device_scalarIT4_EEPKT0_PKT1_PKT2_PT3_21rocsparse_index_base_b,"axG",@progbits,_ZN9rocsparseL17coomvt_aos_kernelILj1024El18rocsparse_bfloat16S1_ffEEv20rocsparse_operation_lNS_24const_host_device_scalarIT4_EEPKT0_PKT1_PKT2_PT3_21rocsparse_index_base_b,comdat
.Lfunc_end56:
	.size	_ZN9rocsparseL17coomvt_aos_kernelILj1024El18rocsparse_bfloat16S1_ffEEv20rocsparse_operation_lNS_24const_host_device_scalarIT4_EEPKT0_PKT1_PKT2_PT3_21rocsparse_index_base_b, .Lfunc_end56-_ZN9rocsparseL17coomvt_aos_kernelILj1024El18rocsparse_bfloat16S1_ffEEv20rocsparse_operation_lNS_24const_host_device_scalarIT4_EEPKT0_PKT1_PKT2_PT3_21rocsparse_index_base_b
                                        ; -- End function
	.set _ZN9rocsparseL17coomvt_aos_kernelILj1024El18rocsparse_bfloat16S1_ffEEv20rocsparse_operation_lNS_24const_host_device_scalarIT4_EEPKT0_PKT1_PKT2_PT3_21rocsparse_index_base_b.num_vgpr, 7
	.set _ZN9rocsparseL17coomvt_aos_kernelILj1024El18rocsparse_bfloat16S1_ffEEv20rocsparse_operation_lNS_24const_host_device_scalarIT4_EEPKT0_PKT1_PKT2_PT3_21rocsparse_index_base_b.num_agpr, 0
	.set _ZN9rocsparseL17coomvt_aos_kernelILj1024El18rocsparse_bfloat16S1_ffEEv20rocsparse_operation_lNS_24const_host_device_scalarIT4_EEPKT0_PKT1_PKT2_PT3_21rocsparse_index_base_b.numbered_sgpr, 16
	.set _ZN9rocsparseL17coomvt_aos_kernelILj1024El18rocsparse_bfloat16S1_ffEEv20rocsparse_operation_lNS_24const_host_device_scalarIT4_EEPKT0_PKT1_PKT2_PT3_21rocsparse_index_base_b.num_named_barrier, 0
	.set _ZN9rocsparseL17coomvt_aos_kernelILj1024El18rocsparse_bfloat16S1_ffEEv20rocsparse_operation_lNS_24const_host_device_scalarIT4_EEPKT0_PKT1_PKT2_PT3_21rocsparse_index_base_b.private_seg_size, 0
	.set _ZN9rocsparseL17coomvt_aos_kernelILj1024El18rocsparse_bfloat16S1_ffEEv20rocsparse_operation_lNS_24const_host_device_scalarIT4_EEPKT0_PKT1_PKT2_PT3_21rocsparse_index_base_b.uses_vcc, 1
	.set _ZN9rocsparseL17coomvt_aos_kernelILj1024El18rocsparse_bfloat16S1_ffEEv20rocsparse_operation_lNS_24const_host_device_scalarIT4_EEPKT0_PKT1_PKT2_PT3_21rocsparse_index_base_b.uses_flat_scratch, 0
	.set _ZN9rocsparseL17coomvt_aos_kernelILj1024El18rocsparse_bfloat16S1_ffEEv20rocsparse_operation_lNS_24const_host_device_scalarIT4_EEPKT0_PKT1_PKT2_PT3_21rocsparse_index_base_b.has_dyn_sized_stack, 0
	.set _ZN9rocsparseL17coomvt_aos_kernelILj1024El18rocsparse_bfloat16S1_ffEEv20rocsparse_operation_lNS_24const_host_device_scalarIT4_EEPKT0_PKT1_PKT2_PT3_21rocsparse_index_base_b.has_recursion, 0
	.set _ZN9rocsparseL17coomvt_aos_kernelILj1024El18rocsparse_bfloat16S1_ffEEv20rocsparse_operation_lNS_24const_host_device_scalarIT4_EEPKT0_PKT1_PKT2_PT3_21rocsparse_index_base_b.has_indirect_call, 0
	.section	.AMDGPU.csdata,"",@progbits
; Kernel info:
; codeLenInByte = 316
; TotalNumSgprs: 18
; NumVgprs: 7
; ScratchSize: 0
; MemoryBound: 0
; FloatMode: 240
; IeeeMode: 1
; LDSByteSize: 0 bytes/workgroup (compile time only)
; SGPRBlocks: 0
; VGPRBlocks: 0
; NumSGPRsForWavesPerEU: 18
; NumVGPRsForWavesPerEU: 7
; NamedBarCnt: 0
; Occupancy: 16
; WaveLimiterHint : 1
; COMPUTE_PGM_RSRC2:SCRATCH_EN: 0
; COMPUTE_PGM_RSRC2:USER_SGPR: 2
; COMPUTE_PGM_RSRC2:TRAP_HANDLER: 0
; COMPUTE_PGM_RSRC2:TGID_X_EN: 1
; COMPUTE_PGM_RSRC2:TGID_Y_EN: 0
; COMPUTE_PGM_RSRC2:TGID_Z_EN: 0
; COMPUTE_PGM_RSRC2:TIDIG_COMP_CNT: 0
	.section	.text._ZN9rocsparseL26coomvn_aos_segmented_loopsILj256El18rocsparse_bfloat16S1_ffEEvlT0_NS_24const_host_device_scalarIT4_EEPKS2_PKT1_PKT2_PT3_PS2_PS4_21rocsparse_index_base_b,"axG",@progbits,_ZN9rocsparseL26coomvn_aos_segmented_loopsILj256El18rocsparse_bfloat16S1_ffEEvlT0_NS_24const_host_device_scalarIT4_EEPKS2_PKT1_PKT2_PT3_PS2_PS4_21rocsparse_index_base_b,comdat
	.globl	_ZN9rocsparseL26coomvn_aos_segmented_loopsILj256El18rocsparse_bfloat16S1_ffEEvlT0_NS_24const_host_device_scalarIT4_EEPKS2_PKT1_PKT2_PT3_PS2_PS4_21rocsparse_index_base_b ; -- Begin function _ZN9rocsparseL26coomvn_aos_segmented_loopsILj256El18rocsparse_bfloat16S1_ffEEvlT0_NS_24const_host_device_scalarIT4_EEPKS2_PKT1_PKT2_PT3_PS2_PS4_21rocsparse_index_base_b
	.p2align	8
	.type	_ZN9rocsparseL26coomvn_aos_segmented_loopsILj256El18rocsparse_bfloat16S1_ffEEvlT0_NS_24const_host_device_scalarIT4_EEPKS2_PKT1_PKT2_PT3_PS2_PS4_21rocsparse_index_base_b,@function
_ZN9rocsparseL26coomvn_aos_segmented_loopsILj256El18rocsparse_bfloat16S1_ffEEvlT0_NS_24const_host_device_scalarIT4_EEPKS2_PKT1_PKT2_PT3_PS2_PS4_21rocsparse_index_base_b: ; @_ZN9rocsparseL26coomvn_aos_segmented_loopsILj256El18rocsparse_bfloat16S1_ffEEvlT0_NS_24const_host_device_scalarIT4_EEPKS2_PKT1_PKT2_PT3_PS2_PS4_21rocsparse_index_base_b
; %bb.0:
	s_clause 0x1
	s_load_b64 s[26:27], s[0:1], 0x48
	s_load_b64 s[14:15], s[0:1], 0x10
	s_wait_kmcnt 0x0
	s_bitcmp1_b32 s27, 0
	s_cselect_b32 s2, -1, 0
	s_delay_alu instid0(SALU_CYCLE_1)
	s_and_b32 vcc_lo, exec_lo, s2
	s_cbranch_vccnz .LBB57_2
; %bb.1:
	s_load_b32 s14, s[14:15], 0x0
.LBB57_2:
	s_wait_kmcnt 0x0
	s_cmp_eq_f32 s14, 0
	s_mov_b32 s25, 0
	s_cbranch_scc1 .LBB57_89
; %bb.3:
	s_clause 0x1
	s_load_b128 s[16:19], s[0:1], 0x0
	s_load_b128 s[20:23], s[0:1], 0x18
	s_bfe_u32 s2, ttmp6, 0x4000c
	s_load_b64 s[30:31], s[0:1], 0x28
	s_add_co_i32 s2, s2, 1
	s_and_b32 s3, ttmp6, 15
	s_mul_i32 s2, ttmp9, s2
	s_getreg_b32 s4, hwreg(HW_REG_IB_STS2, 6, 4)
	s_add_co_i32 s3, s3, s2
	s_cmp_eq_u32 s4, 0
	v_mov_b64_e32 v[2:3], -1
	s_cselect_b32 s24, ttmp9, s3
	v_mov_b32_e32 v6, 0
	s_wait_kmcnt 0x0
	s_mul_u64 s[34:35], s[24:25], s[18:19]
	s_delay_alu instid0(SALU_CYCLE_1) | instskip(NEXT) | instid1(SALU_CYCLE_1)
	s_lshl_b64 s[2:3], s[34:35], 8
	v_dual_mov_b32 v5, s3 :: v_dual_bitop2_b32 v4, s2, v0 bitop3:0x54
	s_mov_b32 s2, exec_lo
	s_delay_alu instid0(VALU_DEP_1)
	v_cmpx_gt_i64_e64 s[16:17], v[4:5]
	s_cbranch_execz .LBB57_5
; %bb.4:
	v_lshl_add_u64 v[2:3], v[4:5], 4, s[20:21]
	s_mov_b32 s27, 0
	global_load_b128 v[6:9], v[2:3], off th:TH_LOAD_NT
	s_wait_loadcnt 0x0
	v_sub_nc_u64_e64 v[2:3], v[6:7], s[26:27]
	v_lshl_add_u64 v[6:7], v[8:9], 1, s[30:31]
	s_ashr_i32 s27, s26, 31
	v_lshl_add_u64 v[8:9], v[4:5], 1, s[22:23]
	s_lshl_b64 s[4:5], s[26:27], 1
	s_delay_alu instid0(VALU_DEP_2) | instid1(SALU_CYCLE_1)
	v_sub_nc_u64_e64 v[6:7], v[6:7], s[4:5]
	global_load_u16 v1, v[6:7], off
	global_load_u16 v10, v[8:9], off
	s_wait_loadcnt 0x0
	v_dual_lshlrev_b32 v1, 16, v1 :: v_dual_lshlrev_b32 v6, 16, v10
	s_delay_alu instid0(VALU_DEP_1)
	v_mul_f32_e32 v6, v1, v6
.LBB57_5:
	s_or_b32 exec_lo, exec_lo, s2
	v_dual_lshlrev_b32 v7, 2, v0 :: v_dual_lshlrev_b32 v1, 3, v0
	v_cmp_eq_u32_e64 s2, 0, v0
	v_cmp_ne_u32_e64 s3, 0, v0
	ds_store_b64 v1, v[2:3]
	ds_store_b32 v7, v6 offset:2048
	v_or_b32_e32 v14, 0x800, v7
	v_add_nc_u32_e32 v15, -8, v1
	s_wait_dscnt 0x0
	s_barrier_signal -1
	s_barrier_wait -1
	s_and_saveexec_b32 s4, s3
	s_cbranch_execz .LBB57_9
; %bb.6:
	ds_load_b64 v[8:9], v15
	s_mov_b32 s5, exec_lo
	s_wait_dscnt 0x0
	v_cmpx_eq_u64_e64 v[2:3], v[8:9]
	s_cbranch_execz .LBB57_8
; %bb.7:
	v_add_nc_u32_e32 v7, -4, v14
	ds_load_b32 v7, v7
	s_wait_dscnt 0x0
	v_add_f32_e32 v6, v6, v7
.LBB57_8:
	s_or_b32 exec_lo, exec_lo, s5
.LBB57_9:
	s_delay_alu instid0(SALU_CYCLE_1)
	s_or_b32 exec_lo, exec_lo, s4
	v_cmp_lt_u32_e64 s4, 1, v0
	v_add_nc_u32_e32 v16, -16, v1
	s_barrier_signal -1
	s_barrier_wait -1
	ds_store_b32 v14, v6
	s_wait_dscnt 0x0
	s_barrier_signal -1
	s_barrier_wait -1
	s_and_saveexec_b32 s5, s4
	s_cbranch_execz .LBB57_13
; %bb.10:
	ds_load_b64 v[8:9], v16
	s_mov_b32 s6, exec_lo
	s_wait_dscnt 0x0
	v_cmpx_eq_u64_e64 v[2:3], v[8:9]
	s_cbranch_execz .LBB57_12
; %bb.11:
	v_add_nc_u32_e32 v7, -8, v14
	ds_load_b32 v7, v7
	s_wait_dscnt 0x0
	v_add_f32_e32 v6, v6, v7
.LBB57_12:
	s_or_b32 exec_lo, exec_lo, s6
.LBB57_13:
	s_delay_alu instid0(SALU_CYCLE_1)
	s_or_b32 exec_lo, exec_lo, s5
	v_cmp_lt_u32_e64 s5, 3, v0
	v_subrev_nc_u32_e32 v17, 32, v1
	s_barrier_signal -1
	s_barrier_wait -1
	ds_store_b32 v14, v6
	s_wait_dscnt 0x0
	s_barrier_signal -1
	s_barrier_wait -1
	s_and_saveexec_b32 s6, s5
	s_cbranch_execz .LBB57_17
; %bb.14:
	ds_load_b64 v[8:9], v17
	s_mov_b32 s7, exec_lo
	s_wait_dscnt 0x0
	v_cmpx_eq_u64_e64 v[2:3], v[8:9]
	s_cbranch_execz .LBB57_16
; %bb.15:
	v_add_nc_u32_e32 v7, -16, v14
	ds_load_b32 v7, v7
	s_wait_dscnt 0x0
	v_add_f32_e32 v6, v6, v7
.LBB57_16:
	s_or_b32 exec_lo, exec_lo, s7
.LBB57_17:
	s_delay_alu instid0(SALU_CYCLE_1)
	s_or_b32 exec_lo, exec_lo, s6
	v_cmp_lt_u32_e64 s6, 7, v0
	v_subrev_nc_u32_e32 v18, 64, v1
	s_barrier_signal -1
	s_barrier_wait -1
	ds_store_b32 v14, v6
	s_wait_dscnt 0x0
	s_barrier_signal -1
	s_barrier_wait -1
	s_and_saveexec_b32 s7, s6
	s_cbranch_execz .LBB57_21
; %bb.18:
	ds_load_b64 v[8:9], v18
	s_mov_b32 s8, exec_lo
	s_wait_dscnt 0x0
	v_cmpx_eq_u64_e64 v[2:3], v[8:9]
	s_cbranch_execz .LBB57_20
; %bb.19:
	v_subrev_nc_u32_e32 v7, 32, v14
	ds_load_b32 v7, v7
	s_wait_dscnt 0x0
	v_add_f32_e32 v6, v6, v7
.LBB57_20:
	s_or_b32 exec_lo, exec_lo, s8
.LBB57_21:
	s_delay_alu instid0(SALU_CYCLE_1)
	s_or_b32 exec_lo, exec_lo, s7
	v_cmp_lt_u32_e64 s7, 15, v0
	v_add_nc_u32_e32 v19, 0xffffff80, v1
	s_barrier_signal -1
	s_barrier_wait -1
	ds_store_b32 v14, v6
	s_wait_dscnt 0x0
	s_barrier_signal -1
	s_barrier_wait -1
	s_and_saveexec_b32 s8, s7
	s_cbranch_execz .LBB57_25
; %bb.22:
	ds_load_b64 v[8:9], v19
	s_mov_b32 s9, exec_lo
	s_wait_dscnt 0x0
	v_cmpx_eq_u64_e64 v[2:3], v[8:9]
	s_cbranch_execz .LBB57_24
; %bb.23:
	v_subrev_nc_u32_e32 v7, 64, v14
	ds_load_b32 v7, v7
	s_wait_dscnt 0x0
	v_add_f32_e32 v6, v6, v7
.LBB57_24:
	s_or_b32 exec_lo, exec_lo, s9
.LBB57_25:
	s_delay_alu instid0(SALU_CYCLE_1)
	s_or_b32 exec_lo, exec_lo, s8
	v_cmp_lt_u32_e64 s8, 31, v0
	v_add_nc_u32_e32 v20, 0xffffff00, v1
	s_barrier_signal -1
	s_barrier_wait -1
	ds_store_b32 v14, v6
	s_wait_dscnt 0x0
	s_barrier_signal -1
	s_barrier_wait -1
	s_and_saveexec_b32 s9, s8
	s_cbranch_execz .LBB57_29
; %bb.26:
	ds_load_b64 v[8:9], v20
	s_mov_b32 s10, exec_lo
	s_wait_dscnt 0x0
	v_cmpx_eq_u64_e64 v[2:3], v[8:9]
	s_cbranch_execz .LBB57_28
; %bb.27:
	v_add_nc_u32_e32 v7, 0xffffff80, v14
	ds_load_b32 v7, v7
	s_wait_dscnt 0x0
	v_add_f32_e32 v6, v6, v7
.LBB57_28:
	s_or_b32 exec_lo, exec_lo, s10
.LBB57_29:
	s_delay_alu instid0(SALU_CYCLE_1)
	s_or_b32 exec_lo, exec_lo, s9
	v_cmp_lt_u32_e64 s9, 63, v0
	v_add_nc_u32_e32 v21, 0xfffffe00, v1
	s_barrier_signal -1
	s_barrier_wait -1
	ds_store_b32 v14, v6
	s_wait_dscnt 0x0
	s_barrier_signal -1
	s_barrier_wait -1
	s_and_saveexec_b32 s10, s9
	s_cbranch_execz .LBB57_33
; %bb.30:
	ds_load_b64 v[8:9], v21
	s_mov_b32 s11, exec_lo
	s_wait_dscnt 0x0
	v_cmpx_eq_u64_e64 v[2:3], v[8:9]
	s_cbranch_execz .LBB57_32
; %bb.31:
	v_add_nc_u32_e32 v7, 0xffffff00, v14
	ds_load_b32 v7, v7
	s_wait_dscnt 0x0
	v_add_f32_e32 v6, v6, v7
.LBB57_32:
	s_or_b32 exec_lo, exec_lo, s11
.LBB57_33:
	;; [unrolled: 26-line block ×3, first 2 shown]
	s_delay_alu instid0(SALU_CYCLE_1)
	s_or_b32 exec_lo, exec_lo, s11
	s_load_b64 s[28:29], s[0:1], 0x30
	v_cmp_gt_u32_e64 s11, 0xff, v0
	s_barrier_signal -1
	s_barrier_wait -1
	ds_store_b32 v14, v6
	s_wait_dscnt 0x0
	s_barrier_signal -1
	s_barrier_wait -1
	s_and_saveexec_b32 s13, s11
	s_cbranch_execz .LBB57_40
; %bb.38:
	ds_load_b64 v[8:9], v1 offset:8
	v_cmp_lt_i64_e64 s12, -1, v[2:3]
	s_wait_dscnt 0x0
	v_cmp_ne_u64_e32 vcc_lo, v[2:3], v[8:9]
	s_and_b32 s12, s12, vcc_lo
	s_delay_alu instid0(SALU_CYCLE_1)
	s_and_b32 exec_lo, exec_lo, s12
	s_cbranch_execz .LBB57_40
; %bb.39:
	s_wait_kmcnt 0x0
	v_lshl_add_u64 v[8:9], v[2:3], 2, s[28:29]
	global_load_b32 v7, v[8:9], off
	s_wait_loadcnt 0x0
	v_fmac_f32_e32 v7, s14, v6
	global_store_b32 v[8:9], v7, off
.LBB57_40:
	s_wait_xcnt 0x0
	s_or_b32 exec_lo, exec_lo, s13
	v_cmp_lt_i64_e64 s12, s[18:19], 2
	s_and_b32 vcc_lo, exec_lo, s12
	s_cbranch_vccnz .LBB57_87
; %bb.41:
	v_dual_mov_b32 v7, 0 :: v_dual_lshlrev_b32 v6, 1, v0
	s_lshl_b64 s[12:13], s[34:35], 9
	v_add_nc_u64_e32 v[4:5], 0x100, v[4:5]
	s_add_nc_u64 s[12:13], s[22:23], s[12:13]
	v_add_nc_u32_e32 v23, -4, v14
	v_add_nc_u64_e32 v[2:3], s[12:13], v[6:7]
	v_lshlrev_b32_e32 v6, 4, v0
	s_lshl_b64 s[12:13], s[34:35], 12
	s_ashr_i32 s37, s26, 31
	s_add_nc_u64 s[12:13], s[20:21], s[12:13]
	s_mov_b32 s36, s26
	v_add_nc_u64_e32 v[10:11], s[12:13], v[6:7]
	v_add_nc_u64_e32 v[8:9], 0x200, v[2:3]
	v_dual_add_nc_u32 v24, -8, v14 :: v_dual_add_nc_u32 v25, -16, v14
	v_subrev_nc_u32_e32 v26, 32, v14
	v_subrev_nc_u32_e32 v27, 64, v14
	v_add_nc_u32_e32 v28, 0xffffff80, v14
	v_add_nc_u64_e32 v[10:11], 0x1000, v[10:11]
	v_add_nc_u32_e32 v29, 0xffffff00, v14
	v_add_nc_u32_e32 v30, 0xfffffe00, v14
	s_lshl_b64 s[22:23], s[36:37], 1
	s_add_nc_u64 s[18:19], s[18:19], -1
	s_mov_b32 s27, 0
	s_sub_nc_u64 s[20:21], s[30:31], s[22:23]
	s_mov_b64 s[22:23], 0
	s_branch .LBB57_43
.LBB57_42:                              ;   in Loop: Header=BB57_43 Depth=1
	s_wait_xcnt 0x0
	s_or_b32 exec_lo, exec_lo, s13
	s_add_nc_u64 s[22:23], s[22:23], 1
	v_add_nc_u64_e32 v[8:9], 0x200, v[8:9]
	v_cmp_le_u64_e64 s12, s[18:19], s[22:23]
	v_add_nc_u64_e32 v[10:11], 0x1000, v[10:11]
	v_add_nc_u64_e32 v[4:5], 0x100, v[4:5]
	s_and_b32 vcc_lo, exec_lo, s12
	s_cbranch_vccnz .LBB57_87
.LBB57_43:                              ; =>This Inner Loop Header: Depth=1
	v_mov_b64_e32 v[2:3], -1
	v_mov_b32_e32 v6, 0
	s_mov_b32 s12, exec_lo
	s_delay_alu instid0(VALU_DEP_3)
	v_cmpx_gt_i64_e64 s[16:17], v[4:5]
	s_cbranch_execz .LBB57_45
; %bb.44:                               ;   in Loop: Header=BB57_43 Depth=1
	global_load_b128 v[32:35], v[10:11], off th:TH_LOAD_NT
	s_wait_loadcnt 0x0
	v_lshl_add_u64 v[2:3], v[34:35], 1, s[20:21]
	global_load_u16 v6, v[8:9], off
	global_load_u16 v12, v[2:3], off
	s_wait_xcnt 0x0
	v_sub_nc_u64_e64 v[2:3], v[32:33], s[26:27]
	s_wait_loadcnt 0x0
	v_dual_lshlrev_b32 v6, 16, v6 :: v_dual_lshlrev_b32 v12, 16, v12
	s_delay_alu instid0(VALU_DEP_1)
	v_mul_f32_e32 v6, v12, v6
.LBB57_45:                              ;   in Loop: Header=BB57_43 Depth=1
	s_or_b32 exec_lo, exec_lo, s12
	s_and_saveexec_b32 s12, s2
	s_cbranch_execz .LBB57_52
; %bb.46:                               ;   in Loop: Header=BB57_43 Depth=1
	ds_load_b64 v[12:13], v7 offset:2040
	s_mov_b32 s13, exec_lo
	s_wait_dscnt 0x0
	v_cmpx_ne_u64_e64 v[2:3], v[12:13]
	s_xor_b32 s13, exec_lo, s13
	s_cbranch_execz .LBB57_49
; %bb.47:                               ;   in Loop: Header=BB57_43 Depth=1
	v_cmp_gt_i64_e32 vcc_lo, 0, v[12:13]
	s_cbranch_vccnz .LBB57_49
; %bb.48:                               ;   in Loop: Header=BB57_43 Depth=1
	v_lshlrev_b64_e32 v[12:13], 2, v[12:13]
	ds_load_b32 v32, v7 offset:3068
	s_wait_kmcnt 0x0
	v_add_nc_u64_e32 v[12:13], s[28:29], v[12:13]
	global_load_b32 v31, v[12:13], off
	s_wait_loadcnt_dscnt 0x0
	v_fmac_f32_e32 v31, s14, v32
	global_store_b32 v[12:13], v31, off
.LBB57_49:                              ;   in Loop: Header=BB57_43 Depth=1
	s_wait_xcnt 0x0
	s_and_not1_saveexec_b32 s13, s13
	s_cbranch_execz .LBB57_51
; %bb.50:                               ;   in Loop: Header=BB57_43 Depth=1
	ds_load_b32 v12, v7 offset:3068
	s_wait_dscnt 0x0
	v_add_f32_e32 v6, v6, v12
.LBB57_51:                              ;   in Loop: Header=BB57_43 Depth=1
	s_or_b32 exec_lo, exec_lo, s13
.LBB57_52:                              ;   in Loop: Header=BB57_43 Depth=1
	s_delay_alu instid0(SALU_CYCLE_1)
	s_or_b32 exec_lo, exec_lo, s12
	s_wait_storecnt 0x0
	s_barrier_signal -1
	s_barrier_wait -1
	ds_store_b64 v1, v[2:3]
	ds_store_b32 v14, v6
	s_wait_dscnt 0x0
	s_barrier_signal -1
	s_barrier_wait -1
	s_and_saveexec_b32 s12, s3
	s_cbranch_execz .LBB57_56
; %bb.53:                               ;   in Loop: Header=BB57_43 Depth=1
	ds_load_b64 v[12:13], v15
	s_mov_b32 s13, exec_lo
	s_wait_dscnt 0x0
	v_cmpx_eq_u64_e64 v[2:3], v[12:13]
	s_cbranch_execz .LBB57_55
; %bb.54:                               ;   in Loop: Header=BB57_43 Depth=1
	ds_load_b32 v12, v23
	s_wait_dscnt 0x0
	v_add_f32_e32 v6, v6, v12
.LBB57_55:                              ;   in Loop: Header=BB57_43 Depth=1
	s_or_b32 exec_lo, exec_lo, s13
.LBB57_56:                              ;   in Loop: Header=BB57_43 Depth=1
	s_delay_alu instid0(SALU_CYCLE_1)
	s_or_b32 exec_lo, exec_lo, s12
	s_barrier_signal -1
	s_barrier_wait -1
	ds_store_b32 v14, v6
	s_wait_dscnt 0x0
	s_barrier_signal -1
	s_barrier_wait -1
	s_and_saveexec_b32 s12, s4
	s_cbranch_execz .LBB57_60
; %bb.57:                               ;   in Loop: Header=BB57_43 Depth=1
	ds_load_b64 v[12:13], v16
	s_mov_b32 s13, exec_lo
	s_wait_dscnt 0x0
	v_cmpx_eq_u64_e64 v[2:3], v[12:13]
	s_cbranch_execz .LBB57_59
; %bb.58:                               ;   in Loop: Header=BB57_43 Depth=1
	ds_load_b32 v12, v24
	s_wait_dscnt 0x0
	v_add_f32_e32 v6, v6, v12
.LBB57_59:                              ;   in Loop: Header=BB57_43 Depth=1
	s_or_b32 exec_lo, exec_lo, s13
.LBB57_60:                              ;   in Loop: Header=BB57_43 Depth=1
	s_delay_alu instid0(SALU_CYCLE_1)
	s_or_b32 exec_lo, exec_lo, s12
	s_barrier_signal -1
	s_barrier_wait -1
	;; [unrolled: 23-line block ×8, first 2 shown]
	ds_store_b32 v14, v6
	s_wait_dscnt 0x0
	s_barrier_signal -1
	s_barrier_wait -1
	s_and_saveexec_b32 s13, s11
	s_cbranch_execz .LBB57_42
; %bb.85:                               ;   in Loop: Header=BB57_43 Depth=1
	ds_load_b64 v[12:13], v1 offset:8
	v_cmp_lt_i64_e64 s12, -1, v[2:3]
	s_wait_dscnt 0x0
	v_cmp_ne_u64_e32 vcc_lo, v[2:3], v[12:13]
	s_and_b32 s12, s12, vcc_lo
	s_delay_alu instid0(SALU_CYCLE_1)
	s_and_b32 exec_lo, exec_lo, s12
	s_cbranch_execz .LBB57_42
; %bb.86:                               ;   in Loop: Header=BB57_43 Depth=1
	s_wait_kmcnt 0x0
	v_lshl_add_u64 v[12:13], v[2:3], 2, s[28:29]
	global_load_b32 v31, v[12:13], off
	s_wait_loadcnt 0x0
	v_fmac_f32_e32 v31, s14, v6
	global_store_b32 v[12:13], v31, off
	s_branch .LBB57_42
.LBB57_87:
	s_load_b128 s[0:3], s[0:1], 0x38
	s_mov_b32 s4, exec_lo
	v_cmpx_eq_u32_e32 0xff, v0
	s_cbranch_execz .LBB57_89
; %bb.88:
	v_dual_mov_b32 v0, 0 :: v_dual_mul_f32 v1, s14, v6
	s_lshl_b64 s[4:5], s[24:25], 3
	s_lshl_b64 s[6:7], s[24:25], 2
	s_wait_kmcnt 0x0
	s_add_nc_u64 s[0:1], s[0:1], s[4:5]
	s_add_nc_u64 s[2:3], s[2:3], s[6:7]
	s_clause 0x1
	global_store_b64 v0, v[2:3], s[0:1] th:TH_STORE_NT
	global_store_b32 v0, v1, s[2:3] th:TH_STORE_NT
.LBB57_89:
	s_endpgm
	.section	.rodata,"a",@progbits
	.p2align	6, 0x0
	.amdhsa_kernel _ZN9rocsparseL26coomvn_aos_segmented_loopsILj256El18rocsparse_bfloat16S1_ffEEvlT0_NS_24const_host_device_scalarIT4_EEPKS2_PKT1_PKT2_PT3_PS2_PS4_21rocsparse_index_base_b
		.amdhsa_group_segment_fixed_size 3072
		.amdhsa_private_segment_fixed_size 0
		.amdhsa_kernarg_size 80
		.amdhsa_user_sgpr_count 2
		.amdhsa_user_sgpr_dispatch_ptr 0
		.amdhsa_user_sgpr_queue_ptr 0
		.amdhsa_user_sgpr_kernarg_segment_ptr 1
		.amdhsa_user_sgpr_dispatch_id 0
		.amdhsa_user_sgpr_kernarg_preload_length 0
		.amdhsa_user_sgpr_kernarg_preload_offset 0
		.amdhsa_user_sgpr_private_segment_size 0
		.amdhsa_wavefront_size32 1
		.amdhsa_uses_dynamic_stack 0
		.amdhsa_enable_private_segment 0
		.amdhsa_system_sgpr_workgroup_id_x 1
		.amdhsa_system_sgpr_workgroup_id_y 0
		.amdhsa_system_sgpr_workgroup_id_z 0
		.amdhsa_system_sgpr_workgroup_info 0
		.amdhsa_system_vgpr_workitem_id 0
		.amdhsa_next_free_vgpr 36
		.amdhsa_next_free_sgpr 38
		.amdhsa_named_barrier_count 0
		.amdhsa_reserve_vcc 1
		.amdhsa_float_round_mode_32 0
		.amdhsa_float_round_mode_16_64 0
		.amdhsa_float_denorm_mode_32 3
		.amdhsa_float_denorm_mode_16_64 3
		.amdhsa_fp16_overflow 0
		.amdhsa_memory_ordered 1
		.amdhsa_forward_progress 1
		.amdhsa_inst_pref_size 22
		.amdhsa_round_robin_scheduling 0
		.amdhsa_exception_fp_ieee_invalid_op 0
		.amdhsa_exception_fp_denorm_src 0
		.amdhsa_exception_fp_ieee_div_zero 0
		.amdhsa_exception_fp_ieee_overflow 0
		.amdhsa_exception_fp_ieee_underflow 0
		.amdhsa_exception_fp_ieee_inexact 0
		.amdhsa_exception_int_div_zero 0
	.end_amdhsa_kernel
	.section	.text._ZN9rocsparseL26coomvn_aos_segmented_loopsILj256El18rocsparse_bfloat16S1_ffEEvlT0_NS_24const_host_device_scalarIT4_EEPKS2_PKT1_PKT2_PT3_PS2_PS4_21rocsparse_index_base_b,"axG",@progbits,_ZN9rocsparseL26coomvn_aos_segmented_loopsILj256El18rocsparse_bfloat16S1_ffEEvlT0_NS_24const_host_device_scalarIT4_EEPKS2_PKT1_PKT2_PT3_PS2_PS4_21rocsparse_index_base_b,comdat
.Lfunc_end57:
	.size	_ZN9rocsparseL26coomvn_aos_segmented_loopsILj256El18rocsparse_bfloat16S1_ffEEvlT0_NS_24const_host_device_scalarIT4_EEPKS2_PKT1_PKT2_PT3_PS2_PS4_21rocsparse_index_base_b, .Lfunc_end57-_ZN9rocsparseL26coomvn_aos_segmented_loopsILj256El18rocsparse_bfloat16S1_ffEEvlT0_NS_24const_host_device_scalarIT4_EEPKS2_PKT1_PKT2_PT3_PS2_PS4_21rocsparse_index_base_b
                                        ; -- End function
	.set _ZN9rocsparseL26coomvn_aos_segmented_loopsILj256El18rocsparse_bfloat16S1_ffEEvlT0_NS_24const_host_device_scalarIT4_EEPKS2_PKT1_PKT2_PT3_PS2_PS4_21rocsparse_index_base_b.num_vgpr, 36
	.set _ZN9rocsparseL26coomvn_aos_segmented_loopsILj256El18rocsparse_bfloat16S1_ffEEvlT0_NS_24const_host_device_scalarIT4_EEPKS2_PKT1_PKT2_PT3_PS2_PS4_21rocsparse_index_base_b.num_agpr, 0
	.set _ZN9rocsparseL26coomvn_aos_segmented_loopsILj256El18rocsparse_bfloat16S1_ffEEvlT0_NS_24const_host_device_scalarIT4_EEPKS2_PKT1_PKT2_PT3_PS2_PS4_21rocsparse_index_base_b.numbered_sgpr, 38
	.set _ZN9rocsparseL26coomvn_aos_segmented_loopsILj256El18rocsparse_bfloat16S1_ffEEvlT0_NS_24const_host_device_scalarIT4_EEPKS2_PKT1_PKT2_PT3_PS2_PS4_21rocsparse_index_base_b.num_named_barrier, 0
	.set _ZN9rocsparseL26coomvn_aos_segmented_loopsILj256El18rocsparse_bfloat16S1_ffEEvlT0_NS_24const_host_device_scalarIT4_EEPKS2_PKT1_PKT2_PT3_PS2_PS4_21rocsparse_index_base_b.private_seg_size, 0
	.set _ZN9rocsparseL26coomvn_aos_segmented_loopsILj256El18rocsparse_bfloat16S1_ffEEvlT0_NS_24const_host_device_scalarIT4_EEPKS2_PKT1_PKT2_PT3_PS2_PS4_21rocsparse_index_base_b.uses_vcc, 1
	.set _ZN9rocsparseL26coomvn_aos_segmented_loopsILj256El18rocsparse_bfloat16S1_ffEEvlT0_NS_24const_host_device_scalarIT4_EEPKS2_PKT1_PKT2_PT3_PS2_PS4_21rocsparse_index_base_b.uses_flat_scratch, 0
	.set _ZN9rocsparseL26coomvn_aos_segmented_loopsILj256El18rocsparse_bfloat16S1_ffEEvlT0_NS_24const_host_device_scalarIT4_EEPKS2_PKT1_PKT2_PT3_PS2_PS4_21rocsparse_index_base_b.has_dyn_sized_stack, 0
	.set _ZN9rocsparseL26coomvn_aos_segmented_loopsILj256El18rocsparse_bfloat16S1_ffEEvlT0_NS_24const_host_device_scalarIT4_EEPKS2_PKT1_PKT2_PT3_PS2_PS4_21rocsparse_index_base_b.has_recursion, 0
	.set _ZN9rocsparseL26coomvn_aos_segmented_loopsILj256El18rocsparse_bfloat16S1_ffEEvlT0_NS_24const_host_device_scalarIT4_EEPKS2_PKT1_PKT2_PT3_PS2_PS4_21rocsparse_index_base_b.has_indirect_call, 0
	.section	.AMDGPU.csdata,"",@progbits
; Kernel info:
; codeLenInByte = 2804
; TotalNumSgprs: 40
; NumVgprs: 36
; ScratchSize: 0
; MemoryBound: 0
; FloatMode: 240
; IeeeMode: 1
; LDSByteSize: 3072 bytes/workgroup (compile time only)
; SGPRBlocks: 0
; VGPRBlocks: 2
; NumSGPRsForWavesPerEU: 40
; NumVGPRsForWavesPerEU: 36
; NamedBarCnt: 0
; Occupancy: 16
; WaveLimiterHint : 1
; COMPUTE_PGM_RSRC2:SCRATCH_EN: 0
; COMPUTE_PGM_RSRC2:USER_SGPR: 2
; COMPUTE_PGM_RSRC2:TRAP_HANDLER: 0
; COMPUTE_PGM_RSRC2:TGID_X_EN: 1
; COMPUTE_PGM_RSRC2:TGID_Y_EN: 0
; COMPUTE_PGM_RSRC2:TGID_Z_EN: 0
; COMPUTE_PGM_RSRC2:TIDIG_COMP_CNT: 0
	.section	.text._ZN9rocsparseL23coomvn_aos_atomic_loopsILj256ELj1Eif21rocsparse_complex_numIfES2_S2_EEvlNS_24const_host_device_scalarIT5_EEPKT1_PKT2_PKT3_PT4_21rocsparse_index_base_b,"axG",@progbits,_ZN9rocsparseL23coomvn_aos_atomic_loopsILj256ELj1Eif21rocsparse_complex_numIfES2_S2_EEvlNS_24const_host_device_scalarIT5_EEPKT1_PKT2_PKT3_PT4_21rocsparse_index_base_b,comdat
	.globl	_ZN9rocsparseL23coomvn_aos_atomic_loopsILj256ELj1Eif21rocsparse_complex_numIfES2_S2_EEvlNS_24const_host_device_scalarIT5_EEPKT1_PKT2_PKT3_PT4_21rocsparse_index_base_b ; -- Begin function _ZN9rocsparseL23coomvn_aos_atomic_loopsILj256ELj1Eif21rocsparse_complex_numIfES2_S2_EEvlNS_24const_host_device_scalarIT5_EEPKT1_PKT2_PKT3_PT4_21rocsparse_index_base_b
	.p2align	8
	.type	_ZN9rocsparseL23coomvn_aos_atomic_loopsILj256ELj1Eif21rocsparse_complex_numIfES2_S2_EEvlNS_24const_host_device_scalarIT5_EEPKT1_PKT2_PKT3_PT4_21rocsparse_index_base_b,@function
_ZN9rocsparseL23coomvn_aos_atomic_loopsILj256ELj1Eif21rocsparse_complex_numIfES2_S2_EEvlNS_24const_host_device_scalarIT5_EEPKT1_PKT2_PKT3_PT4_21rocsparse_index_base_b: ; @_ZN9rocsparseL23coomvn_aos_atomic_loopsILj256ELj1Eif21rocsparse_complex_numIfES2_S2_EEvlNS_24const_host_device_scalarIT5_EEPKT1_PKT2_PKT3_PT4_21rocsparse_index_base_b
; %bb.0:
	s_clause 0x1
	s_load_b64 s[8:9], s[0:1], 0x30
	s_load_b128 s[4:7], s[0:1], 0x0
	v_mov_b32_e32 v9, 0
	s_or_b64 s[2:3], s[0:1], 8
	s_wait_kmcnt 0x0
	s_bitcmp1_b32 s9, 0
	s_cselect_b32 s3, s3, s7
	s_cselect_b32 s2, s2, s6
	flat_load_b64 v[2:3], v9, s[2:3]
	s_wait_loadcnt_dscnt 0x0
	v_cmp_neq_f32_e32 vcc_lo, 0, v2
	v_cmp_neq_f32_e64 s2, 0, v3
	s_or_b32 s2, vcc_lo, s2
	s_delay_alu instid0(SALU_CYCLE_1)
	s_and_saveexec_b32 s3, s2
	s_cbranch_execz .LBB58_40
; %bb.1:
	s_bfe_u32 s2, ttmp6, 0x4000c
	s_and_b32 s3, ttmp6, 15
	s_add_co_i32 s2, s2, 1
	s_getreg_b32 s6, hwreg(HW_REG_IB_STS2, 6, 4)
	s_mul_i32 s2, ttmp9, s2
	v_mov_b64_e32 v[4:5], 0
	s_add_co_i32 s3, s3, s2
	s_cmp_eq_u32 s6, 0
	v_mov_b32_e32 v6, -1
	s_cselect_b32 s2, ttmp9, s3
	s_delay_alu instid0(SALU_CYCLE_1) | instskip(SKIP_1) | instid1(VALU_DEP_1)
	v_lshl_or_b32 v8, s2, 8, v0
	s_mov_b32 s2, exec_lo
	v_cmpx_gt_i64_e64 s[4:5], v[8:9]
	s_cbranch_execz .LBB58_3
; %bb.2:
	s_clause 0x1
	s_load_b128 s[4:7], s[0:1], 0x10
	s_load_b64 s[10:11], s[0:1], 0x20
	s_wait_kmcnt 0x0
	v_lshl_add_u64 v[4:5], v[8:9], 3, s[4:5]
	v_lshl_add_u64 v[6:7], v[8:9], 2, s[6:7]
	v_bfrev_b32_e32 v8, 1
	global_load_b64 v[4:5], v[4:5], off th:TH_LOAD_NT
	s_wait_loadcnt 0x0
	v_subrev_nc_u32_e32 v1, s8, v5
	global_load_b32 v9, v[6:7], off th:TH_LOAD_NT
	global_load_b64 v[10:11], v1, s[10:11] scale_offset
	v_mov_b32_e32 v13, 0
	s_wait_xcnt 0x1
	v_subrev_nc_u32_e32 v6, s8, v4
	s_wait_loadcnt 0x1
	v_mov_b32_e32 v12, v9
	s_wait_loadcnt 0x0
	v_pk_mul_f32 v[14:15], v[10:11], v[8:9] op_sel:[1,0]
	s_delay_alu instid0(VALU_DEP_1)
	v_pk_fma_f32 v[4:5], v[10:11], v[12:13], v[14:15] op_sel_hi:[0,1,1]
.LBB58_3:
	s_or_b32 exec_lo, exec_lo, s2
	v_dual_lshlrev_b32 v8, 2, v0 :: v_dual_lshlrev_b32 v7, 3, v0
	s_mov_b32 s2, exec_lo
	ds_store_b32 v8, v6 offset:2048
	ds_store_b64 v7, v[4:5]
	v_or_b32_e32 v1, 0x800, v8
	s_wait_dscnt 0x0
	s_barrier_signal -1
	s_barrier_wait -1
	v_cmpx_ne_u32_e32 0, v0
	s_cbranch_execz .LBB58_7
; %bb.4:
	v_add_nc_u32_e32 v8, -4, v1
	s_mov_b32 s3, exec_lo
	ds_load_b32 v8, v8
	s_wait_dscnt 0x0
	v_cmpx_eq_u32_e64 v6, v8
	s_cbranch_execz .LBB58_6
; %bb.5:
	v_add_nc_u32_e32 v8, -8, v7
	ds_load_b64 v[8:9], v8
	s_wait_dscnt 0x0
	v_pk_add_f32 v[4:5], v[4:5], v[8:9]
.LBB58_6:
	s_or_b32 exec_lo, exec_lo, s3
.LBB58_7:
	s_delay_alu instid0(SALU_CYCLE_1) | instskip(NEXT) | instid1(SALU_CYCLE_1)
	s_or_b32 exec_lo, exec_lo, s2
	s_mov_b32 s2, exec_lo
	s_barrier_signal -1
	s_barrier_wait -1
	ds_store_b64 v7, v[4:5]
	s_wait_dscnt 0x0
	s_barrier_signal -1
	s_barrier_wait -1
	v_cmpx_lt_u32_e32 1, v0
	s_cbranch_execz .LBB58_11
; %bb.8:
	v_add_nc_u32_e32 v8, -8, v1
	s_mov_b32 s3, exec_lo
	ds_load_b32 v8, v8
	s_wait_dscnt 0x0
	v_cmpx_eq_u32_e64 v6, v8
	s_cbranch_execz .LBB58_10
; %bb.9:
	v_add_nc_u32_e32 v8, -16, v7
	ds_load_b64 v[8:9], v8
	s_wait_dscnt 0x0
	v_pk_add_f32 v[4:5], v[4:5], v[8:9]
.LBB58_10:
	s_or_b32 exec_lo, exec_lo, s3
.LBB58_11:
	s_delay_alu instid0(SALU_CYCLE_1) | instskip(NEXT) | instid1(SALU_CYCLE_1)
	s_or_b32 exec_lo, exec_lo, s2
	s_mov_b32 s2, exec_lo
	s_barrier_signal -1
	s_barrier_wait -1
	ds_store_b64 v7, v[4:5]
	s_wait_dscnt 0x0
	s_barrier_signal -1
	s_barrier_wait -1
	v_cmpx_lt_u32_e32 3, v0
	s_cbranch_execz .LBB58_15
; %bb.12:
	v_add_nc_u32_e32 v8, -16, v1
	s_mov_b32 s3, exec_lo
	ds_load_b32 v8, v8
	s_wait_dscnt 0x0
	v_cmpx_eq_u32_e64 v6, v8
	s_cbranch_execz .LBB58_14
; %bb.13:
	v_subrev_nc_u32_e32 v8, 32, v7
	ds_load_b64 v[8:9], v8
	s_wait_dscnt 0x0
	v_pk_add_f32 v[4:5], v[4:5], v[8:9]
.LBB58_14:
	s_or_b32 exec_lo, exec_lo, s3
.LBB58_15:
	s_delay_alu instid0(SALU_CYCLE_1) | instskip(NEXT) | instid1(SALU_CYCLE_1)
	s_or_b32 exec_lo, exec_lo, s2
	s_mov_b32 s2, exec_lo
	s_barrier_signal -1
	s_barrier_wait -1
	ds_store_b64 v7, v[4:5]
	s_wait_dscnt 0x0
	s_barrier_signal -1
	s_barrier_wait -1
	v_cmpx_lt_u32_e32 7, v0
	s_cbranch_execz .LBB58_19
; %bb.16:
	v_subrev_nc_u32_e32 v8, 32, v1
	s_mov_b32 s3, exec_lo
	ds_load_b32 v8, v8
	s_wait_dscnt 0x0
	v_cmpx_eq_u32_e64 v6, v8
	s_cbranch_execz .LBB58_18
; %bb.17:
	v_subrev_nc_u32_e32 v8, 64, v7
	ds_load_b64 v[8:9], v8
	s_wait_dscnt 0x0
	v_pk_add_f32 v[4:5], v[4:5], v[8:9]
.LBB58_18:
	s_or_b32 exec_lo, exec_lo, s3
.LBB58_19:
	s_delay_alu instid0(SALU_CYCLE_1) | instskip(NEXT) | instid1(SALU_CYCLE_1)
	s_or_b32 exec_lo, exec_lo, s2
	s_mov_b32 s2, exec_lo
	s_barrier_signal -1
	s_barrier_wait -1
	ds_store_b64 v7, v[4:5]
	s_wait_dscnt 0x0
	s_barrier_signal -1
	s_barrier_wait -1
	v_cmpx_lt_u32_e32 15, v0
	s_cbranch_execz .LBB58_23
; %bb.20:
	v_subrev_nc_u32_e32 v8, 64, v1
	s_mov_b32 s3, exec_lo
	ds_load_b32 v8, v8
	s_wait_dscnt 0x0
	v_cmpx_eq_u32_e64 v6, v8
	s_cbranch_execz .LBB58_22
; %bb.21:
	v_add_nc_u32_e32 v8, 0xffffff80, v7
	ds_load_b64 v[8:9], v8
	s_wait_dscnt 0x0
	v_pk_add_f32 v[4:5], v[4:5], v[8:9]
.LBB58_22:
	s_or_b32 exec_lo, exec_lo, s3
.LBB58_23:
	s_delay_alu instid0(SALU_CYCLE_1) | instskip(NEXT) | instid1(SALU_CYCLE_1)
	s_or_b32 exec_lo, exec_lo, s2
	s_mov_b32 s2, exec_lo
	s_barrier_signal -1
	s_barrier_wait -1
	ds_store_b64 v7, v[4:5]
	s_wait_dscnt 0x0
	s_barrier_signal -1
	s_barrier_wait -1
	v_cmpx_lt_u32_e32 31, v0
	s_cbranch_execz .LBB58_27
; %bb.24:
	v_add_nc_u32_e32 v8, 0xffffff80, v1
	s_mov_b32 s3, exec_lo
	ds_load_b32 v8, v8
	s_wait_dscnt 0x0
	v_cmpx_eq_u32_e64 v6, v8
	s_cbranch_execz .LBB58_26
; %bb.25:
	v_add_nc_u32_e32 v8, 0xffffff00, v7
	ds_load_b64 v[8:9], v8
	s_wait_dscnt 0x0
	v_pk_add_f32 v[4:5], v[4:5], v[8:9]
.LBB58_26:
	s_or_b32 exec_lo, exec_lo, s3
.LBB58_27:
	s_delay_alu instid0(SALU_CYCLE_1) | instskip(NEXT) | instid1(SALU_CYCLE_1)
	s_or_b32 exec_lo, exec_lo, s2
	s_mov_b32 s2, exec_lo
	s_barrier_signal -1
	s_barrier_wait -1
	ds_store_b64 v7, v[4:5]
	s_wait_dscnt 0x0
	s_barrier_signal -1
	s_barrier_wait -1
	v_cmpx_lt_u32_e32 63, v0
	s_cbranch_execz .LBB58_31
; %bb.28:
	v_add_nc_u32_e32 v8, 0xffffff00, v1
	s_mov_b32 s3, exec_lo
	ds_load_b32 v8, v8
	s_wait_dscnt 0x0
	v_cmpx_eq_u32_e64 v6, v8
	s_cbranch_execz .LBB58_30
; %bb.29:
	v_add_nc_u32_e32 v8, 0xfffffe00, v7
	ds_load_b64 v[8:9], v8
	s_wait_dscnt 0x0
	v_pk_add_f32 v[4:5], v[4:5], v[8:9]
.LBB58_30:
	s_or_b32 exec_lo, exec_lo, s3
.LBB58_31:
	s_delay_alu instid0(SALU_CYCLE_1)
	s_or_b32 exec_lo, exec_lo, s2
	s_load_b64 s[2:3], s[0:1], 0x28
	s_wait_xcnt 0x0
	s_mov_b32 s0, exec_lo
	s_barrier_signal -1
	s_barrier_wait -1
	ds_store_b64 v7, v[4:5]
	s_wait_dscnt 0x0
	s_barrier_signal -1
	s_barrier_wait -1
	v_cmpx_lt_u32_e32 0x7f, v0
	s_cbranch_execz .LBB58_35
; %bb.32:
	v_add_nc_u32_e32 v8, 0xfffffe00, v1
	s_mov_b32 s1, exec_lo
	ds_load_b32 v8, v8
	s_wait_dscnt 0x0
	v_cmpx_eq_u32_e64 v6, v8
	s_cbranch_execz .LBB58_34
; %bb.33:
	v_add_nc_u32_e32 v8, 0xfffffc00, v7
	ds_load_b64 v[8:9], v8
	s_wait_dscnt 0x0
	v_pk_add_f32 v[4:5], v[4:5], v[8:9]
.LBB58_34:
	s_or_b32 exec_lo, exec_lo, s1
.LBB58_35:
	s_delay_alu instid0(SALU_CYCLE_1) | instskip(NEXT) | instid1(SALU_CYCLE_1)
	s_or_b32 exec_lo, exec_lo, s0
	s_mov_b32 s1, exec_lo
	s_barrier_signal -1
	s_barrier_wait -1
	ds_store_b64 v7, v[4:5]
	s_wait_dscnt 0x0
	s_barrier_signal -1
	s_barrier_wait -1
	v_cmpx_gt_u32_e32 0xff, v0
	s_cbranch_execz .LBB58_38
; %bb.36:
	ds_load_b32 v1, v1 offset:4
	v_cmp_lt_i32_e64 s0, -1, v6
	s_wait_dscnt 0x0
	v_cmp_ne_u32_e32 vcc_lo, v6, v1
	s_and_b32 s0, s0, vcc_lo
	s_delay_alu instid0(SALU_CYCLE_1)
	s_and_b32 exec_lo, exec_lo, s0
	s_cbranch_execz .LBB58_38
; %bb.37:
	v_dual_mov_b32 v7, 0 :: v_dual_mul_f32 v1, v5, -v3
	v_mul_f32_e32 v10, v2, v5
	s_wait_kmcnt 0x0
	s_delay_alu instid0(VALU_DEP_2) | instskip(NEXT) | instid1(VALU_DEP_2)
	v_lshl_add_u64 v[8:9], v[6:7], 3, s[2:3]
	v_dual_fmac_f32 v1, v2, v4 :: v_dual_fmac_f32 v10, v3, v4
	global_atomic_add_f32 v[8:9], v1, off scope:SCOPE_DEV
	s_wait_xcnt 0x0
	global_atomic_add_f32 v[8:9], v10, off offset:4 scope:SCOPE_DEV
.LBB58_38:
	s_wait_xcnt 0x0
	s_or_b32 exec_lo, exec_lo, s1
	v_cmp_eq_u32_e32 vcc_lo, 0xff, v0
	v_cmp_lt_i32_e64 s0, -1, v6
	s_and_b32 s0, vcc_lo, s0
	s_delay_alu instid0(SALU_CYCLE_1)
	s_and_b32 exec_lo, exec_lo, s0
	s_cbranch_execz .LBB58_40
; %bb.39:
	v_dual_mov_b32 v7, 0 :: v_dual_mul_f32 v8, v5, -v3
	v_mul_f32_e32 v5, v2, v5
	s_wait_kmcnt 0x0
	s_delay_alu instid0(VALU_DEP_2) | instskip(NEXT) | instid1(VALU_DEP_2)
	v_lshl_add_u64 v[0:1], v[6:7], 3, s[2:3]
	v_dual_fmac_f32 v8, v2, v4 :: v_dual_fmac_f32 v5, v3, v4
	global_atomic_add_f32 v[0:1], v8, off scope:SCOPE_DEV
	s_wait_xcnt 0x0
	global_atomic_add_f32 v[0:1], v5, off offset:4 scope:SCOPE_DEV
.LBB58_40:
	s_endpgm
	.section	.rodata,"a",@progbits
	.p2align	6, 0x0
	.amdhsa_kernel _ZN9rocsparseL23coomvn_aos_atomic_loopsILj256ELj1Eif21rocsparse_complex_numIfES2_S2_EEvlNS_24const_host_device_scalarIT5_EEPKT1_PKT2_PKT3_PT4_21rocsparse_index_base_b
		.amdhsa_group_segment_fixed_size 3072
		.amdhsa_private_segment_fixed_size 0
		.amdhsa_kernarg_size 56
		.amdhsa_user_sgpr_count 2
		.amdhsa_user_sgpr_dispatch_ptr 0
		.amdhsa_user_sgpr_queue_ptr 0
		.amdhsa_user_sgpr_kernarg_segment_ptr 1
		.amdhsa_user_sgpr_dispatch_id 0
		.amdhsa_user_sgpr_kernarg_preload_length 0
		.amdhsa_user_sgpr_kernarg_preload_offset 0
		.amdhsa_user_sgpr_private_segment_size 0
		.amdhsa_wavefront_size32 1
		.amdhsa_uses_dynamic_stack 0
		.amdhsa_enable_private_segment 0
		.amdhsa_system_sgpr_workgroup_id_x 1
		.amdhsa_system_sgpr_workgroup_id_y 0
		.amdhsa_system_sgpr_workgroup_id_z 0
		.amdhsa_system_sgpr_workgroup_info 0
		.amdhsa_system_vgpr_workitem_id 0
		.amdhsa_next_free_vgpr 16
		.amdhsa_next_free_sgpr 12
		.amdhsa_named_barrier_count 0
		.amdhsa_reserve_vcc 1
		.amdhsa_float_round_mode_32 0
		.amdhsa_float_round_mode_16_64 0
		.amdhsa_float_denorm_mode_32 3
		.amdhsa_float_denorm_mode_16_64 3
		.amdhsa_fp16_overflow 0
		.amdhsa_memory_ordered 1
		.amdhsa_forward_progress 1
		.amdhsa_inst_pref_size 12
		.amdhsa_round_robin_scheduling 0
		.amdhsa_exception_fp_ieee_invalid_op 0
		.amdhsa_exception_fp_denorm_src 0
		.amdhsa_exception_fp_ieee_div_zero 0
		.amdhsa_exception_fp_ieee_overflow 0
		.amdhsa_exception_fp_ieee_underflow 0
		.amdhsa_exception_fp_ieee_inexact 0
		.amdhsa_exception_int_div_zero 0
	.end_amdhsa_kernel
	.section	.text._ZN9rocsparseL23coomvn_aos_atomic_loopsILj256ELj1Eif21rocsparse_complex_numIfES2_S2_EEvlNS_24const_host_device_scalarIT5_EEPKT1_PKT2_PKT3_PT4_21rocsparse_index_base_b,"axG",@progbits,_ZN9rocsparseL23coomvn_aos_atomic_loopsILj256ELj1Eif21rocsparse_complex_numIfES2_S2_EEvlNS_24const_host_device_scalarIT5_EEPKT1_PKT2_PKT3_PT4_21rocsparse_index_base_b,comdat
.Lfunc_end58:
	.size	_ZN9rocsparseL23coomvn_aos_atomic_loopsILj256ELj1Eif21rocsparse_complex_numIfES2_S2_EEvlNS_24const_host_device_scalarIT5_EEPKT1_PKT2_PKT3_PT4_21rocsparse_index_base_b, .Lfunc_end58-_ZN9rocsparseL23coomvn_aos_atomic_loopsILj256ELj1Eif21rocsparse_complex_numIfES2_S2_EEvlNS_24const_host_device_scalarIT5_EEPKT1_PKT2_PKT3_PT4_21rocsparse_index_base_b
                                        ; -- End function
	.set _ZN9rocsparseL23coomvn_aos_atomic_loopsILj256ELj1Eif21rocsparse_complex_numIfES2_S2_EEvlNS_24const_host_device_scalarIT5_EEPKT1_PKT2_PKT3_PT4_21rocsparse_index_base_b.num_vgpr, 16
	.set _ZN9rocsparseL23coomvn_aos_atomic_loopsILj256ELj1Eif21rocsparse_complex_numIfES2_S2_EEvlNS_24const_host_device_scalarIT5_EEPKT1_PKT2_PKT3_PT4_21rocsparse_index_base_b.num_agpr, 0
	.set _ZN9rocsparseL23coomvn_aos_atomic_loopsILj256ELj1Eif21rocsparse_complex_numIfES2_S2_EEvlNS_24const_host_device_scalarIT5_EEPKT1_PKT2_PKT3_PT4_21rocsparse_index_base_b.numbered_sgpr, 12
	.set _ZN9rocsparseL23coomvn_aos_atomic_loopsILj256ELj1Eif21rocsparse_complex_numIfES2_S2_EEvlNS_24const_host_device_scalarIT5_EEPKT1_PKT2_PKT3_PT4_21rocsparse_index_base_b.num_named_barrier, 0
	.set _ZN9rocsparseL23coomvn_aos_atomic_loopsILj256ELj1Eif21rocsparse_complex_numIfES2_S2_EEvlNS_24const_host_device_scalarIT5_EEPKT1_PKT2_PKT3_PT4_21rocsparse_index_base_b.private_seg_size, 0
	.set _ZN9rocsparseL23coomvn_aos_atomic_loopsILj256ELj1Eif21rocsparse_complex_numIfES2_S2_EEvlNS_24const_host_device_scalarIT5_EEPKT1_PKT2_PKT3_PT4_21rocsparse_index_base_b.uses_vcc, 1
	.set _ZN9rocsparseL23coomvn_aos_atomic_loopsILj256ELj1Eif21rocsparse_complex_numIfES2_S2_EEvlNS_24const_host_device_scalarIT5_EEPKT1_PKT2_PKT3_PT4_21rocsparse_index_base_b.uses_flat_scratch, 0
	.set _ZN9rocsparseL23coomvn_aos_atomic_loopsILj256ELj1Eif21rocsparse_complex_numIfES2_S2_EEvlNS_24const_host_device_scalarIT5_EEPKT1_PKT2_PKT3_PT4_21rocsparse_index_base_b.has_dyn_sized_stack, 0
	.set _ZN9rocsparseL23coomvn_aos_atomic_loopsILj256ELj1Eif21rocsparse_complex_numIfES2_S2_EEvlNS_24const_host_device_scalarIT5_EEPKT1_PKT2_PKT3_PT4_21rocsparse_index_base_b.has_recursion, 0
	.set _ZN9rocsparseL23coomvn_aos_atomic_loopsILj256ELj1Eif21rocsparse_complex_numIfES2_S2_EEvlNS_24const_host_device_scalarIT5_EEPKT1_PKT2_PKT3_PT4_21rocsparse_index_base_b.has_indirect_call, 0
	.section	.AMDGPU.csdata,"",@progbits
; Kernel info:
; codeLenInByte = 1488
; TotalNumSgprs: 14
; NumVgprs: 16
; ScratchSize: 0
; MemoryBound: 0
; FloatMode: 240
; IeeeMode: 1
; LDSByteSize: 3072 bytes/workgroup (compile time only)
; SGPRBlocks: 0
; VGPRBlocks: 0
; NumSGPRsForWavesPerEU: 14
; NumVGPRsForWavesPerEU: 16
; NamedBarCnt: 0
; Occupancy: 16
; WaveLimiterHint : 1
; COMPUTE_PGM_RSRC2:SCRATCH_EN: 0
; COMPUTE_PGM_RSRC2:USER_SGPR: 2
; COMPUTE_PGM_RSRC2:TRAP_HANDLER: 0
; COMPUTE_PGM_RSRC2:TGID_X_EN: 1
; COMPUTE_PGM_RSRC2:TGID_Y_EN: 0
; COMPUTE_PGM_RSRC2:TGID_Z_EN: 0
; COMPUTE_PGM_RSRC2:TIDIG_COMP_CNT: 0
	.section	.text._ZN9rocsparseL17coomvt_aos_kernelILj1024Eif21rocsparse_complex_numIfES2_S2_EEv20rocsparse_operation_lNS_24const_host_device_scalarIT4_EEPKT0_PKT1_PKT2_PT3_21rocsparse_index_base_b,"axG",@progbits,_ZN9rocsparseL17coomvt_aos_kernelILj1024Eif21rocsparse_complex_numIfES2_S2_EEv20rocsparse_operation_lNS_24const_host_device_scalarIT4_EEPKT0_PKT1_PKT2_PT3_21rocsparse_index_base_b,comdat
	.globl	_ZN9rocsparseL17coomvt_aos_kernelILj1024Eif21rocsparse_complex_numIfES2_S2_EEv20rocsparse_operation_lNS_24const_host_device_scalarIT4_EEPKT0_PKT1_PKT2_PT3_21rocsparse_index_base_b ; -- Begin function _ZN9rocsparseL17coomvt_aos_kernelILj1024Eif21rocsparse_complex_numIfES2_S2_EEv20rocsparse_operation_lNS_24const_host_device_scalarIT4_EEPKT0_PKT1_PKT2_PT3_21rocsparse_index_base_b
	.p2align	8
	.type	_ZN9rocsparseL17coomvt_aos_kernelILj1024Eif21rocsparse_complex_numIfES2_S2_EEv20rocsparse_operation_lNS_24const_host_device_scalarIT4_EEPKT0_PKT1_PKT2_PT3_21rocsparse_index_base_b,@function
_ZN9rocsparseL17coomvt_aos_kernelILj1024Eif21rocsparse_complex_numIfES2_S2_EEv20rocsparse_operation_lNS_24const_host_device_scalarIT4_EEPKT0_PKT1_PKT2_PT3_21rocsparse_index_base_b: ; @_ZN9rocsparseL17coomvt_aos_kernelILj1024Eif21rocsparse_complex_numIfES2_S2_EEv20rocsparse_operation_lNS_24const_host_device_scalarIT4_EEPKT0_PKT1_PKT2_PT3_21rocsparse_index_base_b
; %bb.0:
	s_clause 0x1
	s_load_b64 s[8:9], s[0:1], 0x38
	s_load_b128 s[4:7], s[0:1], 0x8
	v_mov_b32_e32 v1, 0
	s_add_nc_u64 s[2:3], s[0:1], 16
	s_wait_kmcnt 0x0
	s_bitcmp1_b32 s9, 0
	s_cselect_b32 s3, s3, s7
	s_cselect_b32 s2, s2, s6
	flat_load_b64 v[2:3], v1, s[2:3]
	s_wait_loadcnt_dscnt 0x0
	v_cmp_neq_f32_e32 vcc_lo, 0, v2
	v_cmp_neq_f32_e64 s2, 0, v3
	s_or_b32 s2, vcc_lo, s2
	s_delay_alu instid0(SALU_CYCLE_1)
	s_and_saveexec_b32 s3, s2
	s_cbranch_execz .LBB59_3
; %bb.1:
	s_load_b32 s2, s[0:1], 0x4c
	s_bfe_u32 s3, ttmp6, 0x4000c
	s_and_b32 s6, ttmp6, 15
	s_add_co_i32 s3, s3, 1
	s_getreg_b32 s7, hwreg(HW_REG_IB_STS2, 6, 4)
	s_mul_i32 s3, ttmp9, s3
	s_delay_alu instid0(SALU_CYCLE_1) | instskip(SKIP_4) | instid1(SALU_CYCLE_1)
	s_add_co_i32 s6, s6, s3
	s_wait_kmcnt 0x0
	s_and_b32 s2, s2, 0xffff
	s_cmp_eq_u32 s7, 0
	s_cselect_b32 s3, ttmp9, s6
	v_mad_u32 v0, s3, s2, v0
	s_delay_alu instid0(VALU_DEP_1)
	v_cmp_gt_i64_e32 vcc_lo, s[4:5], v[0:1]
	s_and_b32 exec_lo, exec_lo, vcc_lo
	s_cbranch_execz .LBB59_3
; %bb.2:
	s_load_b256 s[12:19], s[0:1], 0x18
	v_mul_f32_e32 v9, 0x80000000, v3
	s_wait_kmcnt 0x0
	v_lshl_add_u64 v[4:5], v[0:1], 3, s[12:13]
	v_lshl_add_u64 v[0:1], v[0:1], 2, s[14:15]
	global_load_b64 v[4:5], v[4:5], off
	s_wait_loadcnt 0x0
	v_subrev_nc_u32_e32 v4, s8, v4
	global_load_b32 v8, v[0:1], off
	global_load_b64 v[6:7], v4, s[16:17] scale_offset
	s_wait_xcnt 0x0
	v_mul_f32_e32 v4, 0, v2
	v_subrev_nc_u32_e32 v0, s8, v5
	s_wait_loadcnt 0x1
	s_delay_alu instid0(VALU_DEP_2) | instskip(SKIP_1) | instid1(VALU_DEP_1)
	v_dual_fmac_f32 v4, v3, v8 :: v_dual_fmac_f32 v9, v2, v8
	s_wait_loadcnt 0x0
	v_dual_ashrrev_i32 v1, 31, v0 :: v_dual_mul_f32 v3, v9, v7
	s_delay_alu instid0(VALU_DEP_2) | instskip(NEXT) | instid1(VALU_DEP_2)
	v_mul_f32_e64 v2, v7, -v4
	v_lshl_add_u64 v[0:1], v[0:1], 3, s[18:19]
	s_delay_alu instid0(VALU_DEP_2)
	v_dual_fmac_f32 v3, v4, v6 :: v_dual_fmac_f32 v2, v9, v6
	global_atomic_add_f32 v[0:1], v2, off scope:SCOPE_DEV
	s_wait_xcnt 0x0
	global_atomic_add_f32 v[0:1], v3, off offset:4 scope:SCOPE_DEV
.LBB59_3:
	s_endpgm
	.section	.rodata,"a",@progbits
	.p2align	6, 0x0
	.amdhsa_kernel _ZN9rocsparseL17coomvt_aos_kernelILj1024Eif21rocsparse_complex_numIfES2_S2_EEv20rocsparse_operation_lNS_24const_host_device_scalarIT4_EEPKT0_PKT1_PKT2_PT3_21rocsparse_index_base_b
		.amdhsa_group_segment_fixed_size 0
		.amdhsa_private_segment_fixed_size 0
		.amdhsa_kernarg_size 320
		.amdhsa_user_sgpr_count 2
		.amdhsa_user_sgpr_dispatch_ptr 0
		.amdhsa_user_sgpr_queue_ptr 0
		.amdhsa_user_sgpr_kernarg_segment_ptr 1
		.amdhsa_user_sgpr_dispatch_id 0
		.amdhsa_user_sgpr_kernarg_preload_length 0
		.amdhsa_user_sgpr_kernarg_preload_offset 0
		.amdhsa_user_sgpr_private_segment_size 0
		.amdhsa_wavefront_size32 1
		.amdhsa_uses_dynamic_stack 0
		.amdhsa_enable_private_segment 0
		.amdhsa_system_sgpr_workgroup_id_x 1
		.amdhsa_system_sgpr_workgroup_id_y 0
		.amdhsa_system_sgpr_workgroup_id_z 0
		.amdhsa_system_sgpr_workgroup_info 0
		.amdhsa_system_vgpr_workitem_id 0
		.amdhsa_next_free_vgpr 10
		.amdhsa_next_free_sgpr 20
		.amdhsa_named_barrier_count 0
		.amdhsa_reserve_vcc 1
		.amdhsa_float_round_mode_32 0
		.amdhsa_float_round_mode_16_64 0
		.amdhsa_float_denorm_mode_32 3
		.amdhsa_float_denorm_mode_16_64 3
		.amdhsa_fp16_overflow 0
		.amdhsa_memory_ordered 1
		.amdhsa_forward_progress 1
		.amdhsa_inst_pref_size 3
		.amdhsa_round_robin_scheduling 0
		.amdhsa_exception_fp_ieee_invalid_op 0
		.amdhsa_exception_fp_denorm_src 0
		.amdhsa_exception_fp_ieee_div_zero 0
		.amdhsa_exception_fp_ieee_overflow 0
		.amdhsa_exception_fp_ieee_underflow 0
		.amdhsa_exception_fp_ieee_inexact 0
		.amdhsa_exception_int_div_zero 0
	.end_amdhsa_kernel
	.section	.text._ZN9rocsparseL17coomvt_aos_kernelILj1024Eif21rocsparse_complex_numIfES2_S2_EEv20rocsparse_operation_lNS_24const_host_device_scalarIT4_EEPKT0_PKT1_PKT2_PT3_21rocsparse_index_base_b,"axG",@progbits,_ZN9rocsparseL17coomvt_aos_kernelILj1024Eif21rocsparse_complex_numIfES2_S2_EEv20rocsparse_operation_lNS_24const_host_device_scalarIT4_EEPKT0_PKT1_PKT2_PT3_21rocsparse_index_base_b,comdat
.Lfunc_end59:
	.size	_ZN9rocsparseL17coomvt_aos_kernelILj1024Eif21rocsparse_complex_numIfES2_S2_EEv20rocsparse_operation_lNS_24const_host_device_scalarIT4_EEPKT0_PKT1_PKT2_PT3_21rocsparse_index_base_b, .Lfunc_end59-_ZN9rocsparseL17coomvt_aos_kernelILj1024Eif21rocsparse_complex_numIfES2_S2_EEv20rocsparse_operation_lNS_24const_host_device_scalarIT4_EEPKT0_PKT1_PKT2_PT3_21rocsparse_index_base_b
                                        ; -- End function
	.set _ZN9rocsparseL17coomvt_aos_kernelILj1024Eif21rocsparse_complex_numIfES2_S2_EEv20rocsparse_operation_lNS_24const_host_device_scalarIT4_EEPKT0_PKT1_PKT2_PT3_21rocsparse_index_base_b.num_vgpr, 10
	.set _ZN9rocsparseL17coomvt_aos_kernelILj1024Eif21rocsparse_complex_numIfES2_S2_EEv20rocsparse_operation_lNS_24const_host_device_scalarIT4_EEPKT0_PKT1_PKT2_PT3_21rocsparse_index_base_b.num_agpr, 0
	.set _ZN9rocsparseL17coomvt_aos_kernelILj1024Eif21rocsparse_complex_numIfES2_S2_EEv20rocsparse_operation_lNS_24const_host_device_scalarIT4_EEPKT0_PKT1_PKT2_PT3_21rocsparse_index_base_b.numbered_sgpr, 20
	.set _ZN9rocsparseL17coomvt_aos_kernelILj1024Eif21rocsparse_complex_numIfES2_S2_EEv20rocsparse_operation_lNS_24const_host_device_scalarIT4_EEPKT0_PKT1_PKT2_PT3_21rocsparse_index_base_b.num_named_barrier, 0
	.set _ZN9rocsparseL17coomvt_aos_kernelILj1024Eif21rocsparse_complex_numIfES2_S2_EEv20rocsparse_operation_lNS_24const_host_device_scalarIT4_EEPKT0_PKT1_PKT2_PT3_21rocsparse_index_base_b.private_seg_size, 0
	.set _ZN9rocsparseL17coomvt_aos_kernelILj1024Eif21rocsparse_complex_numIfES2_S2_EEv20rocsparse_operation_lNS_24const_host_device_scalarIT4_EEPKT0_PKT1_PKT2_PT3_21rocsparse_index_base_b.uses_vcc, 1
	.set _ZN9rocsparseL17coomvt_aos_kernelILj1024Eif21rocsparse_complex_numIfES2_S2_EEv20rocsparse_operation_lNS_24const_host_device_scalarIT4_EEPKT0_PKT1_PKT2_PT3_21rocsparse_index_base_b.uses_flat_scratch, 0
	.set _ZN9rocsparseL17coomvt_aos_kernelILj1024Eif21rocsparse_complex_numIfES2_S2_EEv20rocsparse_operation_lNS_24const_host_device_scalarIT4_EEPKT0_PKT1_PKT2_PT3_21rocsparse_index_base_b.has_dyn_sized_stack, 0
	.set _ZN9rocsparseL17coomvt_aos_kernelILj1024Eif21rocsparse_complex_numIfES2_S2_EEv20rocsparse_operation_lNS_24const_host_device_scalarIT4_EEPKT0_PKT1_PKT2_PT3_21rocsparse_index_base_b.has_recursion, 0
	.set _ZN9rocsparseL17coomvt_aos_kernelILj1024Eif21rocsparse_complex_numIfES2_S2_EEv20rocsparse_operation_lNS_24const_host_device_scalarIT4_EEPKT0_PKT1_PKT2_PT3_21rocsparse_index_base_b.has_indirect_call, 0
	.section	.AMDGPU.csdata,"",@progbits
; Kernel info:
; codeLenInByte = 360
; TotalNumSgprs: 22
; NumVgprs: 10
; ScratchSize: 0
; MemoryBound: 0
; FloatMode: 240
; IeeeMode: 1
; LDSByteSize: 0 bytes/workgroup (compile time only)
; SGPRBlocks: 0
; VGPRBlocks: 0
; NumSGPRsForWavesPerEU: 22
; NumVGPRsForWavesPerEU: 10
; NamedBarCnt: 0
; Occupancy: 16
; WaveLimiterHint : 1
; COMPUTE_PGM_RSRC2:SCRATCH_EN: 0
; COMPUTE_PGM_RSRC2:USER_SGPR: 2
; COMPUTE_PGM_RSRC2:TRAP_HANDLER: 0
; COMPUTE_PGM_RSRC2:TGID_X_EN: 1
; COMPUTE_PGM_RSRC2:TGID_Y_EN: 0
; COMPUTE_PGM_RSRC2:TGID_Z_EN: 0
; COMPUTE_PGM_RSRC2:TIDIG_COMP_CNT: 0
	.section	.text._ZN9rocsparseL26coomvn_aos_segmented_loopsILj256Eif21rocsparse_complex_numIfES2_S2_EEvlT0_NS_24const_host_device_scalarIT4_EEPKS3_PKT1_PKT2_PT3_PS3_PS5_21rocsparse_index_base_b,"axG",@progbits,_ZN9rocsparseL26coomvn_aos_segmented_loopsILj256Eif21rocsparse_complex_numIfES2_S2_EEvlT0_NS_24const_host_device_scalarIT4_EEPKS3_PKT1_PKT2_PT3_PS3_PS5_21rocsparse_index_base_b,comdat
	.globl	_ZN9rocsparseL26coomvn_aos_segmented_loopsILj256Eif21rocsparse_complex_numIfES2_S2_EEvlT0_NS_24const_host_device_scalarIT4_EEPKS3_PKT1_PKT2_PT3_PS3_PS5_21rocsparse_index_base_b ; -- Begin function _ZN9rocsparseL26coomvn_aos_segmented_loopsILj256Eif21rocsparse_complex_numIfES2_S2_EEvlT0_NS_24const_host_device_scalarIT4_EEPKS3_PKT1_PKT2_PT3_PS3_PS5_21rocsparse_index_base_b
	.p2align	8
	.type	_ZN9rocsparseL26coomvn_aos_segmented_loopsILj256Eif21rocsparse_complex_numIfES2_S2_EEvlT0_NS_24const_host_device_scalarIT4_EEPKS3_PKT1_PKT2_PT3_PS3_PS5_21rocsparse_index_base_b,@function
_ZN9rocsparseL26coomvn_aos_segmented_loopsILj256Eif21rocsparse_complex_numIfES2_S2_EEvlT0_NS_24const_host_device_scalarIT4_EEPKS3_PKT1_PKT2_PT3_PS3_PS5_21rocsparse_index_base_b: ; @_ZN9rocsparseL26coomvn_aos_segmented_loopsILj256Eif21rocsparse_complex_numIfES2_S2_EEvlT0_NS_24const_host_device_scalarIT4_EEPKS3_PKT1_PKT2_PT3_PS3_PS5_21rocsparse_index_base_b
; %bb.0:
	s_clause 0x1
	s_load_b64 s[20:21], s[0:1], 0x48
	s_load_b64 s[2:3], s[0:1], 0x10
	v_mov_b32_e32 v7, 0
	s_add_nc_u64 s[4:5], s[0:1], 16
	s_wait_kmcnt 0x0
	s_bitcmp1_b32 s21, 0
	s_cselect_b32 s3, s5, s3
	s_cselect_b32 s2, s4, s2
	flat_load_b64 v[2:3], v7, s[2:3]
	s_wait_loadcnt_dscnt 0x0
	v_cmp_neq_f32_e32 vcc_lo, 0, v2
	v_cmp_neq_f32_e64 s2, 0, v3
	s_or_b32 s2, vcc_lo, s2
	s_delay_alu instid0(SALU_CYCLE_1)
	s_and_saveexec_b32 s3, s2
	s_cbranch_execz .LBB60_87
; %bb.1:
	s_clause 0x1
	s_load_b96 s[16:18], s[0:1], 0x0
	s_load_b128 s[4:7], s[0:1], 0x18
	s_bfe_u32 s2, ttmp6, 0x4000c
	s_load_b64 s[24:25], s[0:1], 0x28
	s_add_co_i32 s2, s2, 1
	s_and_b32 s3, ttmp6, 15
	s_mul_i32 s2, ttmp9, s2
	s_getreg_b32 s8, hwreg(HW_REG_IB_STS2, 6, 4)
	s_add_co_i32 s3, s3, s2
	s_cmp_eq_u32 s8, 0
	v_mov_b64_e32 v[4:5], 0
	s_cselect_b32 s19, ttmp9, s3
	v_mov_b32_e32 v1, -1
	s_wait_kmcnt 0x0
	s_mul_i32 s2, s19, s18
	s_delay_alu instid0(SALU_CYCLE_1) | instskip(SKIP_1) | instid1(VALU_DEP_1)
	v_lshl_or_b32 v6, s2, 8, v0
	s_mov_b32 s2, exec_lo
	v_lshl_add_u64 v[10:11], v[6:7], 3, s[4:5]
	v_lshl_add_u64 v[12:13], v[6:7], 2, s[6:7]
	v_cmpx_gt_i64_e64 s[16:17], v[6:7]
	s_cbranch_execz .LBB60_3
; %bb.2:
	global_load_b64 v[4:5], v[10:11], off th:TH_LOAD_NT
	s_ashr_i32 s21, s20, 31
	v_bfrev_b32_e32 v14, 1
	s_lshl_b64 s[4:5], s[20:21], 3
	s_wait_loadcnt 0x0
	v_dual_mov_b32 v8, v5 :: v_dual_ashrrev_i32 v9, 31, v5
	v_subrev_nc_u32_e32 v1, s20, v4
	s_delay_alu instid0(VALU_DEP_2) | instskip(NEXT) | instid1(VALU_DEP_1)
	v_lshl_add_u64 v[8:9], v[8:9], 3, s[24:25]
	v_sub_nc_u64_e64 v[8:9], v[8:9], s[4:5]
	global_load_b32 v15, v[12:13], off th:TH_LOAD_NT
	global_load_b64 v[16:17], v[8:9], off
	s_wait_loadcnt 0x1
	s_wait_xcnt 0x0
	v_dual_mov_b32 v9, 0 :: v_dual_mov_b32 v8, v15
	s_wait_loadcnt 0x0
	v_pk_mul_f32 v[18:19], v[16:17], v[14:15] op_sel:[1,0]
	s_delay_alu instid0(VALU_DEP_1)
	v_pk_fma_f32 v[4:5], v[16:17], v[8:9], v[18:19] op_sel_hi:[0,1,1]
.LBB60_3:
	s_or_b32 exec_lo, exec_lo, s2
	v_dual_lshlrev_b32 v8, 2, v0 :: v_dual_lshlrev_b32 v18, 3, v0
	v_cmp_eq_u32_e64 s2, 0, v0
	v_cmp_ne_u32_e64 s3, 0, v0
	ds_store_b32 v8, v1 offset:2048
	ds_store_b64 v18, v[4:5]
	v_or_b32_e32 v19, 0x800, v8
	s_wait_dscnt 0x0
	s_barrier_signal -1
	s_barrier_wait -1
	s_delay_alu instid0(VALU_DEP_1)
	v_add_nc_u32_e32 v20, -4, v19
	s_and_saveexec_b32 s4, s3
	s_cbranch_execz .LBB60_7
; %bb.4:
	ds_load_b32 v8, v20
	s_mov_b32 s5, exec_lo
	s_wait_dscnt 0x0
	v_cmpx_eq_u32_e64 v1, v8
	s_cbranch_execz .LBB60_6
; %bb.5:
	v_add_nc_u32_e32 v8, -8, v18
	ds_load_b64 v[8:9], v8
	s_wait_dscnt 0x0
	v_pk_add_f32 v[4:5], v[4:5], v[8:9]
.LBB60_6:
	s_or_b32 exec_lo, exec_lo, s5
.LBB60_7:
	s_delay_alu instid0(SALU_CYCLE_1)
	s_or_b32 exec_lo, exec_lo, s4
	v_cmp_lt_u32_e64 s4, 1, v0
	v_add_nc_u32_e32 v21, -8, v19
	s_barrier_signal -1
	s_barrier_wait -1
	ds_store_b64 v18, v[4:5]
	s_wait_dscnt 0x0
	s_barrier_signal -1
	s_barrier_wait -1
	s_and_saveexec_b32 s5, s4
	s_cbranch_execz .LBB60_11
; %bb.8:
	ds_load_b32 v8, v21
	s_mov_b32 s6, exec_lo
	s_wait_dscnt 0x0
	v_cmpx_eq_u32_e64 v1, v8
	s_cbranch_execz .LBB60_10
; %bb.9:
	v_add_nc_u32_e32 v8, -16, v18
	ds_load_b64 v[8:9], v8
	s_wait_dscnt 0x0
	v_pk_add_f32 v[4:5], v[4:5], v[8:9]
.LBB60_10:
	s_or_b32 exec_lo, exec_lo, s6
.LBB60_11:
	s_delay_alu instid0(SALU_CYCLE_1)
	s_or_b32 exec_lo, exec_lo, s5
	v_cmp_lt_u32_e64 s5, 3, v0
	v_add_nc_u32_e32 v22, -16, v19
	s_barrier_signal -1
	s_barrier_wait -1
	ds_store_b64 v18, v[4:5]
	s_wait_dscnt 0x0
	s_barrier_signal -1
	s_barrier_wait -1
	s_and_saveexec_b32 s6, s5
	s_cbranch_execz .LBB60_15
; %bb.12:
	ds_load_b32 v8, v22
	s_mov_b32 s7, exec_lo
	s_wait_dscnt 0x0
	v_cmpx_eq_u32_e64 v1, v8
	s_cbranch_execz .LBB60_14
; %bb.13:
	v_subrev_nc_u32_e32 v8, 32, v18
	ds_load_b64 v[8:9], v8
	s_wait_dscnt 0x0
	v_pk_add_f32 v[4:5], v[4:5], v[8:9]
.LBB60_14:
	s_or_b32 exec_lo, exec_lo, s7
.LBB60_15:
	s_delay_alu instid0(SALU_CYCLE_1)
	s_or_b32 exec_lo, exec_lo, s6
	v_cmp_lt_u32_e64 s6, 7, v0
	v_subrev_nc_u32_e32 v23, 32, v19
	s_barrier_signal -1
	s_barrier_wait -1
	ds_store_b64 v18, v[4:5]
	s_wait_dscnt 0x0
	s_barrier_signal -1
	s_barrier_wait -1
	s_and_saveexec_b32 s7, s6
	s_cbranch_execz .LBB60_19
; %bb.16:
	ds_load_b32 v8, v23
	s_mov_b32 s8, exec_lo
	s_wait_dscnt 0x0
	v_cmpx_eq_u32_e64 v1, v8
	s_cbranch_execz .LBB60_18
; %bb.17:
	v_subrev_nc_u32_e32 v8, 64, v18
	ds_load_b64 v[8:9], v8
	s_wait_dscnt 0x0
	v_pk_add_f32 v[4:5], v[4:5], v[8:9]
.LBB60_18:
	s_or_b32 exec_lo, exec_lo, s8
.LBB60_19:
	s_delay_alu instid0(SALU_CYCLE_1)
	s_or_b32 exec_lo, exec_lo, s7
	v_cmp_lt_u32_e64 s7, 15, v0
	v_subrev_nc_u32_e32 v24, 64, v19
	s_barrier_signal -1
	s_barrier_wait -1
	ds_store_b64 v18, v[4:5]
	s_wait_dscnt 0x0
	s_barrier_signal -1
	s_barrier_wait -1
	s_and_saveexec_b32 s8, s7
	s_cbranch_execz .LBB60_23
; %bb.20:
	ds_load_b32 v8, v24
	s_mov_b32 s9, exec_lo
	s_wait_dscnt 0x0
	v_cmpx_eq_u32_e64 v1, v8
	s_cbranch_execz .LBB60_22
; %bb.21:
	v_add_nc_u32_e32 v8, 0xffffff80, v18
	ds_load_b64 v[8:9], v8
	s_wait_dscnt 0x0
	v_pk_add_f32 v[4:5], v[4:5], v[8:9]
.LBB60_22:
	s_or_b32 exec_lo, exec_lo, s9
.LBB60_23:
	s_delay_alu instid0(SALU_CYCLE_1)
	s_or_b32 exec_lo, exec_lo, s8
	v_cmp_lt_u32_e64 s8, 31, v0
	v_add_nc_u32_e32 v25, 0xffffff80, v19
	s_barrier_signal -1
	s_barrier_wait -1
	ds_store_b64 v18, v[4:5]
	s_wait_dscnt 0x0
	s_barrier_signal -1
	s_barrier_wait -1
	s_and_saveexec_b32 s9, s8
	s_cbranch_execz .LBB60_27
; %bb.24:
	ds_load_b32 v8, v25
	s_mov_b32 s10, exec_lo
	s_wait_dscnt 0x0
	v_cmpx_eq_u32_e64 v1, v8
	s_cbranch_execz .LBB60_26
; %bb.25:
	v_add_nc_u32_e32 v8, 0xffffff00, v18
	ds_load_b64 v[8:9], v8
	s_wait_dscnt 0x0
	v_pk_add_f32 v[4:5], v[4:5], v[8:9]
.LBB60_26:
	s_or_b32 exec_lo, exec_lo, s10
.LBB60_27:
	s_delay_alu instid0(SALU_CYCLE_1)
	s_or_b32 exec_lo, exec_lo, s9
	v_cmp_lt_u32_e64 s9, 63, v0
	v_add_nc_u32_e32 v26, 0xffffff00, v19
	s_barrier_signal -1
	s_barrier_wait -1
	ds_store_b64 v18, v[4:5]
	s_wait_dscnt 0x0
	s_barrier_signal -1
	s_barrier_wait -1
	s_and_saveexec_b32 s10, s9
	s_cbranch_execz .LBB60_31
; %bb.28:
	ds_load_b32 v8, v26
	s_mov_b32 s11, exec_lo
	s_wait_dscnt 0x0
	v_cmpx_eq_u32_e64 v1, v8
	s_cbranch_execz .LBB60_30
; %bb.29:
	v_add_nc_u32_e32 v8, 0xfffffe00, v18
	ds_load_b64 v[8:9], v8
	s_wait_dscnt 0x0
	v_pk_add_f32 v[4:5], v[4:5], v[8:9]
.LBB60_30:
	s_or_b32 exec_lo, exec_lo, s11
.LBB60_31:
	s_delay_alu instid0(SALU_CYCLE_1)
	s_or_b32 exec_lo, exec_lo, s10
	s_load_b64 s[22:23], s[0:1], 0x30
	v_cmp_lt_u32_e64 s10, 0x7f, v0
	v_add_nc_u32_e32 v27, 0xfffffe00, v19
	s_barrier_signal -1
	s_barrier_wait -1
	ds_store_b64 v18, v[4:5]
	s_wait_dscnt 0x0
	s_barrier_signal -1
	s_barrier_wait -1
	s_and_saveexec_b32 s11, s10
	s_cbranch_execz .LBB60_35
; %bb.32:
	ds_load_b32 v8, v27
	s_mov_b32 s12, exec_lo
	s_wait_dscnt 0x0
	v_cmpx_eq_u32_e64 v1, v8
	s_cbranch_execz .LBB60_34
; %bb.33:
	v_add_nc_u32_e32 v8, 0xfffffc00, v18
	ds_load_b64 v[8:9], v8
	s_wait_dscnt 0x0
	v_pk_add_f32 v[4:5], v[4:5], v[8:9]
.LBB60_34:
	s_or_b32 exec_lo, exec_lo, s12
.LBB60_35:
	s_delay_alu instid0(SALU_CYCLE_1)
	s_or_b32 exec_lo, exec_lo, s11
	v_cmp_gt_u32_e64 s11, 0xff, v0
	s_barrier_signal -1
	s_barrier_wait -1
	ds_store_b64 v18, v[4:5]
	s_wait_dscnt 0x0
	s_barrier_signal -1
	s_barrier_wait -1
	s_and_saveexec_b32 s13, s11
	s_cbranch_execz .LBB60_38
; %bb.36:
	ds_load_b32 v8, v19 offset:4
	v_cmp_lt_i32_e64 s12, -1, v1
	s_wait_dscnt 0x0
	v_cmp_ne_u32_e32 vcc_lo, v1, v8
	s_and_b32 s12, s12, vcc_lo
	s_delay_alu instid0(SALU_CYCLE_1)
	s_and_b32 exec_lo, exec_lo, s12
	s_cbranch_execz .LBB60_38
; %bb.37:
	s_wait_kmcnt 0x0
	global_load_b64 v[8:9], v1, s[22:23] scale_offset
	v_xor_b32_e32 v14, 0x80000000, v3
	v_mov_b32_e32 v15, v2
	s_wait_loadcnt 0x0
	v_pk_fma_f32 v[8:9], v[2:3], v[4:5], v[8:9] op_sel_hi:[1,0,1]
	s_delay_alu instid0(VALU_DEP_1)
	v_pk_fma_f32 v[8:9], v[14:15], v[4:5], v[8:9] op_sel:[0,1,0]
	global_store_b64 v1, v[8:9], s[22:23] scale_offset
.LBB60_38:
	s_wait_xcnt 0x0
	s_or_b32 exec_lo, exec_lo, s13
	s_load_b128 s[12:15], s[0:1], 0x38
	v_xor_b32_e32 v8, 0x80000000, v3
	s_cmp_lt_i32 s18, 2
	s_cbranch_scc1 .LBB60_85
; %bb.39:
	v_add_nc_u64_e32 v[12:13], 0x400, v[12:13]
	v_add_nc_u64_e32 v[10:11], 0x800, v[10:11]
	;; [unrolled: 1-line block ×3, first 2 shown]
	s_ashr_i32 s21, s20, 31
	v_dual_add_nc_u32 v28, -8, v18 :: v_dual_add_nc_u32 v29, -16, v18
	v_subrev_nc_u32_e32 v30, 32, v18
	v_subrev_nc_u32_e32 v31, 64, v18
	v_dual_mov_b32 v9, v2 :: v_dual_add_nc_u32 v32, 0xffffff80, v18
	v_add_nc_u32_e32 v33, 0xffffff00, v18
	v_dual_mov_b32 v17, 0 :: v_dual_add_nc_u32 v34, 0xfffffe00, v18
	v_add_nc_u32_e32 v35, 0xfffffc00, v18
	v_bfrev_b32_e32 v14, 1
	s_wait_xcnt 0x0
	s_lshl_b64 s[0:1], s[20:21], 3
	s_delay_alu instid0(SALU_CYCLE_1)
	s_sub_nc_u64 s[24:25], s[24:25], s[0:1]
	s_add_co_i32 s1, s18, -1
	s_branch .LBB60_41
.LBB60_40:                              ;   in Loop: Header=BB60_41 Depth=1
	s_wait_xcnt 0x0
	s_or_b32 exec_lo, exec_lo, s18
	v_add_nc_u64_e32 v[12:13], 0x400, v[12:13]
	v_add_nc_u64_e32 v[10:11], 0x800, v[10:11]
	;; [unrolled: 1-line block ×3, first 2 shown]
	s_add_co_i32 s1, s1, -1
	s_delay_alu instid0(SALU_CYCLE_1)
	s_cmp_eq_u32 s1, 0
	s_cbranch_scc1 .LBB60_85
.LBB60_41:                              ; =>This Inner Loop Header: Depth=1
	v_mov_b64_e32 v[4:5], 0
	v_mov_b32_e32 v1, -1
	s_mov_b32 s0, exec_lo
	v_cmpx_gt_i64_e64 s[16:17], v[6:7]
	s_cbranch_execz .LBB60_43
; %bb.42:                               ;   in Loop: Header=BB60_41 Depth=1
	global_load_b64 v[4:5], v[10:11], off th:TH_LOAD_NT
	global_load_b32 v15, v[12:13], off th:TH_LOAD_NT
	s_wait_loadcnt 0x1
	global_load_b64 v[36:37], v5, s[24:25] scale_offset
	s_wait_loadcnt 0x1
	v_mov_b32_e32 v16, v15
	v_subrev_nc_u32_e32 v1, s20, v4
	s_wait_loadcnt 0x0
	v_pk_mul_f32 v[38:39], v[36:37], v[14:15] op_sel:[1,0]
	s_wait_xcnt 0x0
	s_delay_alu instid0(VALU_DEP_1)
	v_pk_fma_f32 v[4:5], v[36:37], v[16:17], v[38:39] op_sel_hi:[0,1,1]
.LBB60_43:                              ;   in Loop: Header=BB60_41 Depth=1
	s_or_b32 exec_lo, exec_lo, s0
	s_and_saveexec_b32 s0, s2
	s_cbranch_execz .LBB60_50
; %bb.44:                               ;   in Loop: Header=BB60_41 Depth=1
	ds_load_b32 v15, v17 offset:3068
	s_mov_b32 s18, exec_lo
	s_wait_dscnt 0x0
	v_cmpx_ne_u32_e64 v1, v15
	s_xor_b32 s18, exec_lo, s18
	s_cbranch_execz .LBB60_47
; %bb.45:                               ;   in Loop: Header=BB60_41 Depth=1
	v_cmp_gt_i32_e32 vcc_lo, 0, v15
	s_cbranch_vccnz .LBB60_47
; %bb.46:                               ;   in Loop: Header=BB60_41 Depth=1
	s_wait_kmcnt 0x0
	global_load_b64 v[36:37], v15, s[22:23] scale_offset
	ds_load_b64 v[38:39], v17 offset:2040
	s_wait_loadcnt_dscnt 0x0
	v_pk_fma_f32 v[36:37], v[2:3], v[38:39], v[36:37] op_sel_hi:[1,0,1]
	s_delay_alu instid0(VALU_DEP_1)
	v_pk_fma_f32 v[36:37], v[8:9], v[38:39], v[36:37] op_sel:[0,1,0]
	global_store_b64 v15, v[36:37], s[22:23] scale_offset
.LBB60_47:                              ;   in Loop: Header=BB60_41 Depth=1
	s_wait_xcnt 0x0
	s_and_not1_saveexec_b32 s18, s18
	s_cbranch_execz .LBB60_49
; %bb.48:                               ;   in Loop: Header=BB60_41 Depth=1
	ds_load_b64 v[36:37], v17 offset:2040
	s_wait_dscnt 0x0
	v_pk_add_f32 v[4:5], v[4:5], v[36:37]
.LBB60_49:                              ;   in Loop: Header=BB60_41 Depth=1
	s_or_b32 exec_lo, exec_lo, s18
.LBB60_50:                              ;   in Loop: Header=BB60_41 Depth=1
	s_delay_alu instid0(SALU_CYCLE_1)
	s_or_b32 exec_lo, exec_lo, s0
	s_wait_storecnt 0x0
	s_barrier_signal -1
	s_barrier_wait -1
	ds_store_b32 v19, v1
	ds_store_b64 v18, v[4:5]
	s_wait_dscnt 0x0
	s_barrier_signal -1
	s_barrier_wait -1
	s_and_saveexec_b32 s0, s3
	s_cbranch_execz .LBB60_54
; %bb.51:                               ;   in Loop: Header=BB60_41 Depth=1
	ds_load_b32 v15, v20
	s_mov_b32 s18, exec_lo
	s_wait_dscnt 0x0
	v_cmpx_eq_u32_e64 v1, v15
	s_cbranch_execz .LBB60_53
; %bb.52:                               ;   in Loop: Header=BB60_41 Depth=1
	ds_load_b64 v[36:37], v28
	s_wait_dscnt 0x0
	v_pk_add_f32 v[4:5], v[4:5], v[36:37]
.LBB60_53:                              ;   in Loop: Header=BB60_41 Depth=1
	s_or_b32 exec_lo, exec_lo, s18
.LBB60_54:                              ;   in Loop: Header=BB60_41 Depth=1
	s_delay_alu instid0(SALU_CYCLE_1)
	s_or_b32 exec_lo, exec_lo, s0
	s_barrier_signal -1
	s_barrier_wait -1
	ds_store_b64 v18, v[4:5]
	s_wait_dscnt 0x0
	s_barrier_signal -1
	s_barrier_wait -1
	s_and_saveexec_b32 s0, s4
	s_cbranch_execz .LBB60_58
; %bb.55:                               ;   in Loop: Header=BB60_41 Depth=1
	ds_load_b32 v15, v21
	s_mov_b32 s18, exec_lo
	s_wait_dscnt 0x0
	v_cmpx_eq_u32_e64 v1, v15
	s_cbranch_execz .LBB60_57
; %bb.56:                               ;   in Loop: Header=BB60_41 Depth=1
	ds_load_b64 v[36:37], v29
	s_wait_dscnt 0x0
	v_pk_add_f32 v[4:5], v[4:5], v[36:37]
.LBB60_57:                              ;   in Loop: Header=BB60_41 Depth=1
	s_or_b32 exec_lo, exec_lo, s18
.LBB60_58:                              ;   in Loop: Header=BB60_41 Depth=1
	s_delay_alu instid0(SALU_CYCLE_1)
	s_or_b32 exec_lo, exec_lo, s0
	s_barrier_signal -1
	s_barrier_wait -1
	;; [unrolled: 23-line block ×8, first 2 shown]
	ds_store_b64 v18, v[4:5]
	s_wait_dscnt 0x0
	s_barrier_signal -1
	s_barrier_wait -1
	s_and_saveexec_b32 s18, s11
	s_cbranch_execz .LBB60_40
; %bb.83:                               ;   in Loop: Header=BB60_41 Depth=1
	ds_load_b32 v15, v19 offset:4
	v_cmp_lt_i32_e64 s0, -1, v1
	s_wait_dscnt 0x0
	v_cmp_ne_u32_e32 vcc_lo, v1, v15
	s_and_b32 s0, s0, vcc_lo
	s_delay_alu instid0(SALU_CYCLE_1)
	s_and_b32 exec_lo, exec_lo, s0
	s_cbranch_execz .LBB60_40
; %bb.84:                               ;   in Loop: Header=BB60_41 Depth=1
	s_wait_kmcnt 0x0
	global_load_b64 v[36:37], v1, s[22:23] scale_offset
	s_wait_loadcnt 0x0
	v_pk_fma_f32 v[36:37], v[2:3], v[4:5], v[36:37] op_sel_hi:[1,0,1]
	s_delay_alu instid0(VALU_DEP_1)
	v_pk_fma_f32 v[36:37], v[8:9], v[4:5], v[36:37] op_sel:[0,1,0]
	global_store_b64 v1, v[36:37], s[22:23] scale_offset
	s_branch .LBB60_40
.LBB60_85:
	v_cmp_eq_u32_e32 vcc_lo, 0xff, v0
	s_and_b32 exec_lo, exec_lo, vcc_lo
	s_cbranch_execz .LBB60_87
; %bb.86:
	v_dual_mov_b32 v9, v2 :: v_dual_mov_b32 v0, s19
	s_delay_alu instid0(VALU_DEP_1) | instskip(NEXT) | instid1(VALU_DEP_1)
	v_pk_mul_f32 v[6:7], v[4:5], v[8:9] op_sel:[1,0]
	v_pk_fma_f32 v[2:3], v[2:3], v[4:5], v[6:7] op_sel_hi:[1,0,1]
	s_wait_kmcnt 0x0
	s_clause 0x1
	global_store_b32 v0, v1, s[12:13] scale_offset th:TH_STORE_NT
	global_store_b64 v0, v[2:3], s[14:15] scale_offset th:TH_STORE_NT
.LBB60_87:
	s_endpgm
	.section	.rodata,"a",@progbits
	.p2align	6, 0x0
	.amdhsa_kernel _ZN9rocsparseL26coomvn_aos_segmented_loopsILj256Eif21rocsparse_complex_numIfES2_S2_EEvlT0_NS_24const_host_device_scalarIT4_EEPKS3_PKT1_PKT2_PT3_PS3_PS5_21rocsparse_index_base_b
		.amdhsa_group_segment_fixed_size 3072
		.amdhsa_private_segment_fixed_size 0
		.amdhsa_kernarg_size 80
		.amdhsa_user_sgpr_count 2
		.amdhsa_user_sgpr_dispatch_ptr 0
		.amdhsa_user_sgpr_queue_ptr 0
		.amdhsa_user_sgpr_kernarg_segment_ptr 1
		.amdhsa_user_sgpr_dispatch_id 0
		.amdhsa_user_sgpr_kernarg_preload_length 0
		.amdhsa_user_sgpr_kernarg_preload_offset 0
		.amdhsa_user_sgpr_private_segment_size 0
		.amdhsa_wavefront_size32 1
		.amdhsa_uses_dynamic_stack 0
		.amdhsa_enable_private_segment 0
		.amdhsa_system_sgpr_workgroup_id_x 1
		.amdhsa_system_sgpr_workgroup_id_y 0
		.amdhsa_system_sgpr_workgroup_id_z 0
		.amdhsa_system_sgpr_workgroup_info 0
		.amdhsa_system_vgpr_workitem_id 0
		.amdhsa_next_free_vgpr 40
		.amdhsa_next_free_sgpr 26
		.amdhsa_named_barrier_count 0
		.amdhsa_reserve_vcc 1
		.amdhsa_float_round_mode_32 0
		.amdhsa_float_round_mode_16_64 0
		.amdhsa_float_denorm_mode_32 3
		.amdhsa_float_denorm_mode_16_64 3
		.amdhsa_fp16_overflow 0
		.amdhsa_memory_ordered 1
		.amdhsa_forward_progress 1
		.amdhsa_inst_pref_size 23
		.amdhsa_round_robin_scheduling 0
		.amdhsa_exception_fp_ieee_invalid_op 0
		.amdhsa_exception_fp_denorm_src 0
		.amdhsa_exception_fp_ieee_div_zero 0
		.amdhsa_exception_fp_ieee_overflow 0
		.amdhsa_exception_fp_ieee_underflow 0
		.amdhsa_exception_fp_ieee_inexact 0
		.amdhsa_exception_int_div_zero 0
	.end_amdhsa_kernel
	.section	.text._ZN9rocsparseL26coomvn_aos_segmented_loopsILj256Eif21rocsparse_complex_numIfES2_S2_EEvlT0_NS_24const_host_device_scalarIT4_EEPKS3_PKT1_PKT2_PT3_PS3_PS5_21rocsparse_index_base_b,"axG",@progbits,_ZN9rocsparseL26coomvn_aos_segmented_loopsILj256Eif21rocsparse_complex_numIfES2_S2_EEvlT0_NS_24const_host_device_scalarIT4_EEPKS3_PKT1_PKT2_PT3_PS3_PS5_21rocsparse_index_base_b,comdat
.Lfunc_end60:
	.size	_ZN9rocsparseL26coomvn_aos_segmented_loopsILj256Eif21rocsparse_complex_numIfES2_S2_EEvlT0_NS_24const_host_device_scalarIT4_EEPKS3_PKT1_PKT2_PT3_PS3_PS5_21rocsparse_index_base_b, .Lfunc_end60-_ZN9rocsparseL26coomvn_aos_segmented_loopsILj256Eif21rocsparse_complex_numIfES2_S2_EEvlT0_NS_24const_host_device_scalarIT4_EEPKS3_PKT1_PKT2_PT3_PS3_PS5_21rocsparse_index_base_b
                                        ; -- End function
	.set _ZN9rocsparseL26coomvn_aos_segmented_loopsILj256Eif21rocsparse_complex_numIfES2_S2_EEvlT0_NS_24const_host_device_scalarIT4_EEPKS3_PKT1_PKT2_PT3_PS3_PS5_21rocsparse_index_base_b.num_vgpr, 40
	.set _ZN9rocsparseL26coomvn_aos_segmented_loopsILj256Eif21rocsparse_complex_numIfES2_S2_EEvlT0_NS_24const_host_device_scalarIT4_EEPKS3_PKT1_PKT2_PT3_PS3_PS5_21rocsparse_index_base_b.num_agpr, 0
	.set _ZN9rocsparseL26coomvn_aos_segmented_loopsILj256Eif21rocsparse_complex_numIfES2_S2_EEvlT0_NS_24const_host_device_scalarIT4_EEPKS3_PKT1_PKT2_PT3_PS3_PS5_21rocsparse_index_base_b.numbered_sgpr, 26
	.set _ZN9rocsparseL26coomvn_aos_segmented_loopsILj256Eif21rocsparse_complex_numIfES2_S2_EEvlT0_NS_24const_host_device_scalarIT4_EEPKS3_PKT1_PKT2_PT3_PS3_PS5_21rocsparse_index_base_b.num_named_barrier, 0
	.set _ZN9rocsparseL26coomvn_aos_segmented_loopsILj256Eif21rocsparse_complex_numIfES2_S2_EEvlT0_NS_24const_host_device_scalarIT4_EEPKS3_PKT1_PKT2_PT3_PS3_PS5_21rocsparse_index_base_b.private_seg_size, 0
	.set _ZN9rocsparseL26coomvn_aos_segmented_loopsILj256Eif21rocsparse_complex_numIfES2_S2_EEvlT0_NS_24const_host_device_scalarIT4_EEPKS3_PKT1_PKT2_PT3_PS3_PS5_21rocsparse_index_base_b.uses_vcc, 1
	.set _ZN9rocsparseL26coomvn_aos_segmented_loopsILj256Eif21rocsparse_complex_numIfES2_S2_EEvlT0_NS_24const_host_device_scalarIT4_EEPKS3_PKT1_PKT2_PT3_PS3_PS5_21rocsparse_index_base_b.uses_flat_scratch, 0
	.set _ZN9rocsparseL26coomvn_aos_segmented_loopsILj256Eif21rocsparse_complex_numIfES2_S2_EEvlT0_NS_24const_host_device_scalarIT4_EEPKS3_PKT1_PKT2_PT3_PS3_PS5_21rocsparse_index_base_b.has_dyn_sized_stack, 0
	.set _ZN9rocsparseL26coomvn_aos_segmented_loopsILj256Eif21rocsparse_complex_numIfES2_S2_EEvlT0_NS_24const_host_device_scalarIT4_EEPKS3_PKT1_PKT2_PT3_PS3_PS5_21rocsparse_index_base_b.has_recursion, 0
	.set _ZN9rocsparseL26coomvn_aos_segmented_loopsILj256Eif21rocsparse_complex_numIfES2_S2_EEvlT0_NS_24const_host_device_scalarIT4_EEPKS3_PKT1_PKT2_PT3_PS3_PS5_21rocsparse_index_base_b.has_indirect_call, 0
	.section	.AMDGPU.csdata,"",@progbits
; Kernel info:
; codeLenInByte = 2908
; TotalNumSgprs: 28
; NumVgprs: 40
; ScratchSize: 0
; MemoryBound: 0
; FloatMode: 240
; IeeeMode: 1
; LDSByteSize: 3072 bytes/workgroup (compile time only)
; SGPRBlocks: 0
; VGPRBlocks: 2
; NumSGPRsForWavesPerEU: 28
; NumVGPRsForWavesPerEU: 40
; NamedBarCnt: 0
; Occupancy: 16
; WaveLimiterHint : 1
; COMPUTE_PGM_RSRC2:SCRATCH_EN: 0
; COMPUTE_PGM_RSRC2:USER_SGPR: 2
; COMPUTE_PGM_RSRC2:TRAP_HANDLER: 0
; COMPUTE_PGM_RSRC2:TGID_X_EN: 1
; COMPUTE_PGM_RSRC2:TGID_Y_EN: 0
; COMPUTE_PGM_RSRC2:TGID_Z_EN: 0
; COMPUTE_PGM_RSRC2:TIDIG_COMP_CNT: 0
	.section	.text._ZN9rocsparseL23coomvn_aos_atomic_loopsILj256ELj1Elf21rocsparse_complex_numIfES2_S2_EEvlNS_24const_host_device_scalarIT5_EEPKT1_PKT2_PKT3_PT4_21rocsparse_index_base_b,"axG",@progbits,_ZN9rocsparseL23coomvn_aos_atomic_loopsILj256ELj1Elf21rocsparse_complex_numIfES2_S2_EEvlNS_24const_host_device_scalarIT5_EEPKT1_PKT2_PKT3_PT4_21rocsparse_index_base_b,comdat
	.globl	_ZN9rocsparseL23coomvn_aos_atomic_loopsILj256ELj1Elf21rocsparse_complex_numIfES2_S2_EEvlNS_24const_host_device_scalarIT5_EEPKT1_PKT2_PKT3_PT4_21rocsparse_index_base_b ; -- Begin function _ZN9rocsparseL23coomvn_aos_atomic_loopsILj256ELj1Elf21rocsparse_complex_numIfES2_S2_EEvlNS_24const_host_device_scalarIT5_EEPKT1_PKT2_PKT3_PT4_21rocsparse_index_base_b
	.p2align	8
	.type	_ZN9rocsparseL23coomvn_aos_atomic_loopsILj256ELj1Elf21rocsparse_complex_numIfES2_S2_EEvlNS_24const_host_device_scalarIT5_EEPKT1_PKT2_PKT3_PT4_21rocsparse_index_base_b,@function
_ZN9rocsparseL23coomvn_aos_atomic_loopsILj256ELj1Elf21rocsparse_complex_numIfES2_S2_EEvlNS_24const_host_device_scalarIT5_EEPKT1_PKT2_PKT3_PT4_21rocsparse_index_base_b: ; @_ZN9rocsparseL23coomvn_aos_atomic_loopsILj256ELj1Elf21rocsparse_complex_numIfES2_S2_EEvlNS_24const_host_device_scalarIT5_EEPKT1_PKT2_PKT3_PT4_21rocsparse_index_base_b
; %bb.0:
	s_clause 0x1
	s_load_b64 s[8:9], s[0:1], 0x30
	s_load_b128 s[4:7], s[0:1], 0x0
	v_mov_b32_e32 v9, 0
	s_or_b64 s[2:3], s[0:1], 8
	s_wait_kmcnt 0x0
	s_bitcmp1_b32 s9, 0
	s_cselect_b32 s3, s3, s7
	s_cselect_b32 s2, s2, s6
	flat_load_b64 v[2:3], v9, s[2:3]
	s_wait_loadcnt_dscnt 0x0
	v_cmp_neq_f32_e32 vcc_lo, 0, v2
	v_cmp_neq_f32_e64 s2, 0, v3
	s_or_b32 s2, vcc_lo, s2
	s_delay_alu instid0(SALU_CYCLE_1)
	s_and_saveexec_b32 s3, s2
	s_cbranch_execz .LBB61_40
; %bb.1:
	s_bfe_u32 s2, ttmp6, 0x4000c
	s_and_b32 s3, ttmp6, 15
	s_add_co_i32 s2, s2, 1
	s_getreg_b32 s6, hwreg(HW_REG_IB_STS2, 6, 4)
	s_mul_i32 s2, ttmp9, s2
	v_mov_b64_e32 v[4:5], -1
	s_add_co_i32 s3, s3, s2
	s_cmp_eq_u32 s6, 0
	v_mov_b64_e32 v[6:7], 0
	s_cselect_b32 s2, ttmp9, s3
	s_delay_alu instid0(SALU_CYCLE_1) | instskip(SKIP_1) | instid1(VALU_DEP_1)
	v_lshl_or_b32 v8, s2, 8, v0
	s_mov_b32 s2, exec_lo
	v_cmpx_gt_i64_e64 s[4:5], v[8:9]
	s_cbranch_execz .LBB61_3
; %bb.2:
	s_clause 0x1
	s_load_b128 s[4:7], s[0:1], 0x10
	s_load_b64 s[10:11], s[0:1], 0x20
	s_mov_b32 s9, 0
	v_bfrev_b32_e32 v10, 1
	s_wait_kmcnt 0x0
	v_lshl_add_u64 v[4:5], v[8:9], 4, s[4:5]
	v_lshl_add_u64 v[8:9], v[8:9], 2, s[6:7]
	global_load_b128 v[4:7], v[4:5], off th:TH_LOAD_NT
	s_wait_loadcnt 0x0
	v_sub_nc_u64_e64 v[6:7], v[6:7], s[8:9]
	v_sub_nc_u64_e64 v[4:5], v[4:5], s[8:9]
	s_delay_alu instid0(VALU_DEP_2)
	v_lshl_add_u64 v[6:7], v[6:7], 3, s[10:11]
	global_load_b32 v11, v[8:9], off th:TH_LOAD_NT
	global_load_b64 v[12:13], v[6:7], off
	s_wait_loadcnt 0x1
	s_wait_xcnt 0x0
	v_dual_mov_b32 v7, 0 :: v_dual_mov_b32 v6, v11
	s_wait_loadcnt 0x0
	v_pk_mul_f32 v[8:9], v[12:13], v[10:11] op_sel:[1,0]
	s_delay_alu instid0(VALU_DEP_1)
	v_pk_fma_f32 v[6:7], v[12:13], v[6:7], v[8:9] op_sel_hi:[0,1,1]
.LBB61_3:
	s_or_b32 exec_lo, exec_lo, s2
	v_lshlrev_b32_e32 v1, 3, v0
	s_mov_b32 s2, exec_lo
	s_delay_alu instid0(VALU_DEP_1)
	v_or_b32_e32 v8, 0x800, v1
	ds_store_2addr_stride64_b64 v1, v[4:5], v[6:7] offset1:4
	s_wait_dscnt 0x0
	s_barrier_signal -1
	s_barrier_wait -1
	v_cmpx_ne_u32_e32 0, v0
	s_cbranch_execz .LBB61_7
; %bb.4:
	v_add_nc_u32_e32 v9, -8, v1
	s_mov_b32 s3, exec_lo
	ds_load_b64 v[10:11], v9
	s_wait_dscnt 0x0
	v_cmpx_eq_u64_e64 v[4:5], v[10:11]
	s_cbranch_execz .LBB61_6
; %bb.5:
	v_add_nc_u32_e32 v9, -8, v8
	ds_load_b64 v[10:11], v9
	s_wait_dscnt 0x0
	v_pk_add_f32 v[6:7], v[6:7], v[10:11]
.LBB61_6:
	s_or_b32 exec_lo, exec_lo, s3
.LBB61_7:
	s_delay_alu instid0(SALU_CYCLE_1) | instskip(NEXT) | instid1(SALU_CYCLE_1)
	s_or_b32 exec_lo, exec_lo, s2
	s_mov_b32 s2, exec_lo
	s_barrier_signal -1
	s_barrier_wait -1
	ds_store_b64 v8, v[6:7]
	s_wait_dscnt 0x0
	s_barrier_signal -1
	s_barrier_wait -1
	v_cmpx_lt_u32_e32 1, v0
	s_cbranch_execz .LBB61_11
; %bb.8:
	v_add_nc_u32_e32 v9, -16, v1
	s_mov_b32 s3, exec_lo
	ds_load_b64 v[10:11], v9
	s_wait_dscnt 0x0
	v_cmpx_eq_u64_e64 v[4:5], v[10:11]
	s_cbranch_execz .LBB61_10
; %bb.9:
	v_add_nc_u32_e32 v9, -16, v8
	ds_load_b64 v[10:11], v9
	s_wait_dscnt 0x0
	v_pk_add_f32 v[6:7], v[6:7], v[10:11]
.LBB61_10:
	s_or_b32 exec_lo, exec_lo, s3
.LBB61_11:
	s_delay_alu instid0(SALU_CYCLE_1) | instskip(NEXT) | instid1(SALU_CYCLE_1)
	s_or_b32 exec_lo, exec_lo, s2
	s_mov_b32 s2, exec_lo
	s_barrier_signal -1
	s_barrier_wait -1
	ds_store_b64 v8, v[6:7]
	s_wait_dscnt 0x0
	s_barrier_signal -1
	s_barrier_wait -1
	v_cmpx_lt_u32_e32 3, v0
	s_cbranch_execz .LBB61_15
; %bb.12:
	v_subrev_nc_u32_e32 v9, 32, v1
	s_mov_b32 s3, exec_lo
	ds_load_b64 v[10:11], v9
	s_wait_dscnt 0x0
	v_cmpx_eq_u64_e64 v[4:5], v[10:11]
	s_cbranch_execz .LBB61_14
; %bb.13:
	v_subrev_nc_u32_e32 v9, 32, v8
	ds_load_b64 v[10:11], v9
	s_wait_dscnt 0x0
	v_pk_add_f32 v[6:7], v[6:7], v[10:11]
.LBB61_14:
	s_or_b32 exec_lo, exec_lo, s3
.LBB61_15:
	s_delay_alu instid0(SALU_CYCLE_1) | instskip(NEXT) | instid1(SALU_CYCLE_1)
	s_or_b32 exec_lo, exec_lo, s2
	s_mov_b32 s2, exec_lo
	s_barrier_signal -1
	s_barrier_wait -1
	ds_store_b64 v8, v[6:7]
	s_wait_dscnt 0x0
	s_barrier_signal -1
	s_barrier_wait -1
	v_cmpx_lt_u32_e32 7, v0
	s_cbranch_execz .LBB61_19
; %bb.16:
	v_subrev_nc_u32_e32 v9, 64, v1
	s_mov_b32 s3, exec_lo
	ds_load_b64 v[10:11], v9
	s_wait_dscnt 0x0
	v_cmpx_eq_u64_e64 v[4:5], v[10:11]
	s_cbranch_execz .LBB61_18
; %bb.17:
	v_subrev_nc_u32_e32 v9, 64, v8
	ds_load_b64 v[10:11], v9
	s_wait_dscnt 0x0
	v_pk_add_f32 v[6:7], v[6:7], v[10:11]
.LBB61_18:
	s_or_b32 exec_lo, exec_lo, s3
.LBB61_19:
	s_delay_alu instid0(SALU_CYCLE_1) | instskip(NEXT) | instid1(SALU_CYCLE_1)
	s_or_b32 exec_lo, exec_lo, s2
	s_mov_b32 s2, exec_lo
	s_barrier_signal -1
	s_barrier_wait -1
	ds_store_b64 v8, v[6:7]
	s_wait_dscnt 0x0
	s_barrier_signal -1
	s_barrier_wait -1
	v_cmpx_lt_u32_e32 15, v0
	s_cbranch_execz .LBB61_23
; %bb.20:
	v_add_nc_u32_e32 v9, 0xffffff80, v1
	s_mov_b32 s3, exec_lo
	ds_load_b64 v[10:11], v9
	s_wait_dscnt 0x0
	v_cmpx_eq_u64_e64 v[4:5], v[10:11]
	s_cbranch_execz .LBB61_22
; %bb.21:
	v_add_nc_u32_e32 v9, 0xffffff80, v8
	ds_load_b64 v[10:11], v9
	s_wait_dscnt 0x0
	v_pk_add_f32 v[6:7], v[6:7], v[10:11]
.LBB61_22:
	s_or_b32 exec_lo, exec_lo, s3
.LBB61_23:
	s_delay_alu instid0(SALU_CYCLE_1) | instskip(NEXT) | instid1(SALU_CYCLE_1)
	s_or_b32 exec_lo, exec_lo, s2
	s_mov_b32 s2, exec_lo
	s_barrier_signal -1
	s_barrier_wait -1
	ds_store_b64 v8, v[6:7]
	s_wait_dscnt 0x0
	s_barrier_signal -1
	s_barrier_wait -1
	v_cmpx_lt_u32_e32 31, v0
	s_cbranch_execz .LBB61_27
; %bb.24:
	v_add_nc_u32_e32 v9, 0xffffff00, v1
	s_mov_b32 s3, exec_lo
	ds_load_b64 v[10:11], v9
	s_wait_dscnt 0x0
	v_cmpx_eq_u64_e64 v[4:5], v[10:11]
	s_cbranch_execz .LBB61_26
; %bb.25:
	v_add_nc_u32_e32 v9, 0xffffff00, v8
	ds_load_b64 v[10:11], v9
	s_wait_dscnt 0x0
	v_pk_add_f32 v[6:7], v[6:7], v[10:11]
.LBB61_26:
	s_or_b32 exec_lo, exec_lo, s3
.LBB61_27:
	;; [unrolled: 26-line block ×4, first 2 shown]
	s_delay_alu instid0(SALU_CYCLE_1)
	s_or_b32 exec_lo, exec_lo, s2
	s_load_b64 s[2:3], s[0:1], 0x28
	s_wait_xcnt 0x0
	s_mov_b32 s1, exec_lo
	s_barrier_signal -1
	s_barrier_wait -1
	ds_store_b64 v8, v[6:7]
	s_wait_dscnt 0x0
	s_barrier_signal -1
	s_barrier_wait -1
	v_cmpx_gt_u32_e32 0xff, v0
	s_cbranch_execz .LBB61_38
; %bb.36:
	ds_load_b64 v[8:9], v1 offset:8
	v_cmp_lt_i64_e64 s0, -1, v[4:5]
	s_wait_dscnt 0x0
	v_cmp_ne_u64_e32 vcc_lo, v[4:5], v[8:9]
	s_and_b32 s0, s0, vcc_lo
	s_delay_alu instid0(SALU_CYCLE_1)
	s_and_b32 exec_lo, exec_lo, s0
	s_cbranch_execz .LBB61_38
; %bb.37:
	v_mul_f32_e64 v1, v7, -v3
	v_mul_f32_e32 v10, v2, v7
	s_wait_kmcnt 0x0
	v_lshl_add_u64 v[8:9], v[4:5], 3, s[2:3]
	s_delay_alu instid0(VALU_DEP_2)
	v_dual_fmac_f32 v1, v2, v6 :: v_dual_fmac_f32 v10, v3, v6
	global_atomic_add_f32 v[8:9], v1, off scope:SCOPE_DEV
	s_wait_xcnt 0x0
	global_atomic_add_f32 v[8:9], v10, off offset:4 scope:SCOPE_DEV
.LBB61_38:
	s_wait_xcnt 0x0
	s_or_b32 exec_lo, exec_lo, s1
	v_cmp_lt_i64_e32 vcc_lo, -1, v[4:5]
	v_cmp_eq_u32_e64 s0, 0xff, v0
	s_and_b32 s0, s0, vcc_lo
	s_delay_alu instid0(SALU_CYCLE_1)
	s_and_b32 exec_lo, exec_lo, s0
	s_cbranch_execz .LBB61_40
; %bb.39:
	v_mul_f32_e64 v8, v7, -v3
	v_mul_f32_e32 v7, v2, v7
	s_wait_kmcnt 0x0
	v_lshl_add_u64 v[0:1], v[4:5], 3, s[2:3]
	s_delay_alu instid0(VALU_DEP_2)
	v_dual_fmac_f32 v8, v2, v6 :: v_dual_fmac_f32 v7, v3, v6
	global_atomic_add_f32 v[0:1], v8, off scope:SCOPE_DEV
	s_wait_xcnt 0x0
	global_atomic_add_f32 v[0:1], v7, off offset:4 scope:SCOPE_DEV
.LBB61_40:
	s_endpgm
	.section	.rodata,"a",@progbits
	.p2align	6, 0x0
	.amdhsa_kernel _ZN9rocsparseL23coomvn_aos_atomic_loopsILj256ELj1Elf21rocsparse_complex_numIfES2_S2_EEvlNS_24const_host_device_scalarIT5_EEPKT1_PKT2_PKT3_PT4_21rocsparse_index_base_b
		.amdhsa_group_segment_fixed_size 4096
		.amdhsa_private_segment_fixed_size 0
		.amdhsa_kernarg_size 56
		.amdhsa_user_sgpr_count 2
		.amdhsa_user_sgpr_dispatch_ptr 0
		.amdhsa_user_sgpr_queue_ptr 0
		.amdhsa_user_sgpr_kernarg_segment_ptr 1
		.amdhsa_user_sgpr_dispatch_id 0
		.amdhsa_user_sgpr_kernarg_preload_length 0
		.amdhsa_user_sgpr_kernarg_preload_offset 0
		.amdhsa_user_sgpr_private_segment_size 0
		.amdhsa_wavefront_size32 1
		.amdhsa_uses_dynamic_stack 0
		.amdhsa_enable_private_segment 0
		.amdhsa_system_sgpr_workgroup_id_x 1
		.amdhsa_system_sgpr_workgroup_id_y 0
		.amdhsa_system_sgpr_workgroup_id_z 0
		.amdhsa_system_sgpr_workgroup_info 0
		.amdhsa_system_vgpr_workitem_id 0
		.amdhsa_next_free_vgpr 14
		.amdhsa_next_free_sgpr 12
		.amdhsa_named_barrier_count 0
		.amdhsa_reserve_vcc 1
		.amdhsa_float_round_mode_32 0
		.amdhsa_float_round_mode_16_64 0
		.amdhsa_float_denorm_mode_32 3
		.amdhsa_float_denorm_mode_16_64 3
		.amdhsa_fp16_overflow 0
		.amdhsa_memory_ordered 1
		.amdhsa_forward_progress 1
		.amdhsa_inst_pref_size 12
		.amdhsa_round_robin_scheduling 0
		.amdhsa_exception_fp_ieee_invalid_op 0
		.amdhsa_exception_fp_denorm_src 0
		.amdhsa_exception_fp_ieee_div_zero 0
		.amdhsa_exception_fp_ieee_overflow 0
		.amdhsa_exception_fp_ieee_underflow 0
		.amdhsa_exception_fp_ieee_inexact 0
		.amdhsa_exception_int_div_zero 0
	.end_amdhsa_kernel
	.section	.text._ZN9rocsparseL23coomvn_aos_atomic_loopsILj256ELj1Elf21rocsparse_complex_numIfES2_S2_EEvlNS_24const_host_device_scalarIT5_EEPKT1_PKT2_PKT3_PT4_21rocsparse_index_base_b,"axG",@progbits,_ZN9rocsparseL23coomvn_aos_atomic_loopsILj256ELj1Elf21rocsparse_complex_numIfES2_S2_EEvlNS_24const_host_device_scalarIT5_EEPKT1_PKT2_PKT3_PT4_21rocsparse_index_base_b,comdat
.Lfunc_end61:
	.size	_ZN9rocsparseL23coomvn_aos_atomic_loopsILj256ELj1Elf21rocsparse_complex_numIfES2_S2_EEvlNS_24const_host_device_scalarIT5_EEPKT1_PKT2_PKT3_PT4_21rocsparse_index_base_b, .Lfunc_end61-_ZN9rocsparseL23coomvn_aos_atomic_loopsILj256ELj1Elf21rocsparse_complex_numIfES2_S2_EEvlNS_24const_host_device_scalarIT5_EEPKT1_PKT2_PKT3_PT4_21rocsparse_index_base_b
                                        ; -- End function
	.set _ZN9rocsparseL23coomvn_aos_atomic_loopsILj256ELj1Elf21rocsparse_complex_numIfES2_S2_EEvlNS_24const_host_device_scalarIT5_EEPKT1_PKT2_PKT3_PT4_21rocsparse_index_base_b.num_vgpr, 14
	.set _ZN9rocsparseL23coomvn_aos_atomic_loopsILj256ELj1Elf21rocsparse_complex_numIfES2_S2_EEvlNS_24const_host_device_scalarIT5_EEPKT1_PKT2_PKT3_PT4_21rocsparse_index_base_b.num_agpr, 0
	.set _ZN9rocsparseL23coomvn_aos_atomic_loopsILj256ELj1Elf21rocsparse_complex_numIfES2_S2_EEvlNS_24const_host_device_scalarIT5_EEPKT1_PKT2_PKT3_PT4_21rocsparse_index_base_b.numbered_sgpr, 12
	.set _ZN9rocsparseL23coomvn_aos_atomic_loopsILj256ELj1Elf21rocsparse_complex_numIfES2_S2_EEvlNS_24const_host_device_scalarIT5_EEPKT1_PKT2_PKT3_PT4_21rocsparse_index_base_b.num_named_barrier, 0
	.set _ZN9rocsparseL23coomvn_aos_atomic_loopsILj256ELj1Elf21rocsparse_complex_numIfES2_S2_EEvlNS_24const_host_device_scalarIT5_EEPKT1_PKT2_PKT3_PT4_21rocsparse_index_base_b.private_seg_size, 0
	.set _ZN9rocsparseL23coomvn_aos_atomic_loopsILj256ELj1Elf21rocsparse_complex_numIfES2_S2_EEvlNS_24const_host_device_scalarIT5_EEPKT1_PKT2_PKT3_PT4_21rocsparse_index_base_b.uses_vcc, 1
	.set _ZN9rocsparseL23coomvn_aos_atomic_loopsILj256ELj1Elf21rocsparse_complex_numIfES2_S2_EEvlNS_24const_host_device_scalarIT5_EEPKT1_PKT2_PKT3_PT4_21rocsparse_index_base_b.uses_flat_scratch, 0
	.set _ZN9rocsparseL23coomvn_aos_atomic_loopsILj256ELj1Elf21rocsparse_complex_numIfES2_S2_EEvlNS_24const_host_device_scalarIT5_EEPKT1_PKT2_PKT3_PT4_21rocsparse_index_base_b.has_dyn_sized_stack, 0
	.set _ZN9rocsparseL23coomvn_aos_atomic_loopsILj256ELj1Elf21rocsparse_complex_numIfES2_S2_EEvlNS_24const_host_device_scalarIT5_EEPKT1_PKT2_PKT3_PT4_21rocsparse_index_base_b.has_recursion, 0
	.set _ZN9rocsparseL23coomvn_aos_atomic_loopsILj256ELj1Elf21rocsparse_complex_numIfES2_S2_EEvlNS_24const_host_device_scalarIT5_EEPKT1_PKT2_PKT3_PT4_21rocsparse_index_base_b.has_indirect_call, 0
	.section	.AMDGPU.csdata,"",@progbits
; Kernel info:
; codeLenInByte = 1496
; TotalNumSgprs: 14
; NumVgprs: 14
; ScratchSize: 0
; MemoryBound: 0
; FloatMode: 240
; IeeeMode: 1
; LDSByteSize: 4096 bytes/workgroup (compile time only)
; SGPRBlocks: 0
; VGPRBlocks: 0
; NumSGPRsForWavesPerEU: 14
; NumVGPRsForWavesPerEU: 14
; NamedBarCnt: 0
; Occupancy: 16
; WaveLimiterHint : 1
; COMPUTE_PGM_RSRC2:SCRATCH_EN: 0
; COMPUTE_PGM_RSRC2:USER_SGPR: 2
; COMPUTE_PGM_RSRC2:TRAP_HANDLER: 0
; COMPUTE_PGM_RSRC2:TGID_X_EN: 1
; COMPUTE_PGM_RSRC2:TGID_Y_EN: 0
; COMPUTE_PGM_RSRC2:TGID_Z_EN: 0
; COMPUTE_PGM_RSRC2:TIDIG_COMP_CNT: 0
	.section	.text._ZN9rocsparseL17coomvt_aos_kernelILj1024Elf21rocsparse_complex_numIfES2_S2_EEv20rocsparse_operation_lNS_24const_host_device_scalarIT4_EEPKT0_PKT1_PKT2_PT3_21rocsparse_index_base_b,"axG",@progbits,_ZN9rocsparseL17coomvt_aos_kernelILj1024Elf21rocsparse_complex_numIfES2_S2_EEv20rocsparse_operation_lNS_24const_host_device_scalarIT4_EEPKT0_PKT1_PKT2_PT3_21rocsparse_index_base_b,comdat
	.globl	_ZN9rocsparseL17coomvt_aos_kernelILj1024Elf21rocsparse_complex_numIfES2_S2_EEv20rocsparse_operation_lNS_24const_host_device_scalarIT4_EEPKT0_PKT1_PKT2_PT3_21rocsparse_index_base_b ; -- Begin function _ZN9rocsparseL17coomvt_aos_kernelILj1024Elf21rocsparse_complex_numIfES2_S2_EEv20rocsparse_operation_lNS_24const_host_device_scalarIT4_EEPKT0_PKT1_PKT2_PT3_21rocsparse_index_base_b
	.p2align	8
	.type	_ZN9rocsparseL17coomvt_aos_kernelILj1024Elf21rocsparse_complex_numIfES2_S2_EEv20rocsparse_operation_lNS_24const_host_device_scalarIT4_EEPKT0_PKT1_PKT2_PT3_21rocsparse_index_base_b,@function
_ZN9rocsparseL17coomvt_aos_kernelILj1024Elf21rocsparse_complex_numIfES2_S2_EEv20rocsparse_operation_lNS_24const_host_device_scalarIT4_EEPKT0_PKT1_PKT2_PT3_21rocsparse_index_base_b: ; @_ZN9rocsparseL17coomvt_aos_kernelILj1024Elf21rocsparse_complex_numIfES2_S2_EEv20rocsparse_operation_lNS_24const_host_device_scalarIT4_EEPKT0_PKT1_PKT2_PT3_21rocsparse_index_base_b
; %bb.0:
	s_clause 0x1
	s_load_b64 s[8:9], s[0:1], 0x38
	s_load_b128 s[4:7], s[0:1], 0x8
	v_mov_b32_e32 v1, 0
	s_add_nc_u64 s[2:3], s[0:1], 16
	s_wait_kmcnt 0x0
	s_bitcmp1_b32 s9, 0
	s_cselect_b32 s3, s3, s7
	s_cselect_b32 s2, s2, s6
	flat_load_b64 v[2:3], v1, s[2:3]
	s_wait_loadcnt_dscnt 0x0
	v_cmp_neq_f32_e32 vcc_lo, 0, v2
	v_cmp_neq_f32_e64 s2, 0, v3
	s_or_b32 s2, vcc_lo, s2
	s_delay_alu instid0(SALU_CYCLE_1)
	s_and_saveexec_b32 s3, s2
	s_cbranch_execz .LBB62_3
; %bb.1:
	s_load_b32 s2, s[0:1], 0x4c
	s_bfe_u32 s3, ttmp6, 0x4000c
	s_and_b32 s6, ttmp6, 15
	s_add_co_i32 s3, s3, 1
	s_getreg_b32 s7, hwreg(HW_REG_IB_STS2, 6, 4)
	s_mul_i32 s3, ttmp9, s3
	s_delay_alu instid0(SALU_CYCLE_1) | instskip(SKIP_4) | instid1(SALU_CYCLE_1)
	s_add_co_i32 s6, s6, s3
	s_wait_kmcnt 0x0
	s_and_b32 s2, s2, 0xffff
	s_cmp_eq_u32 s7, 0
	s_cselect_b32 s3, ttmp9, s6
	v_mad_u32 v0, s3, s2, v0
	s_delay_alu instid0(VALU_DEP_1)
	v_cmp_gt_i64_e32 vcc_lo, s[4:5], v[0:1]
	s_and_b32 exec_lo, exec_lo, vcc_lo
	s_cbranch_execz .LBB62_3
; %bb.2:
	s_load_b256 s[12:19], s[0:1], 0x18
	s_mov_b32 s9, 0
	s_wait_kmcnt 0x0
	v_lshl_add_u64 v[4:5], v[0:1], 4, s[12:13]
	v_lshl_add_u64 v[0:1], v[0:1], 2, s[14:15]
	global_load_b128 v[4:7], v[4:5], off
	global_load_b32 v8, v[0:1], off
	s_wait_loadcnt 0x1
	s_wait_xcnt 0x1
	v_sub_nc_u64_e64 v[4:5], v[4:5], s[8:9]
	s_wait_xcnt 0x0
	s_delay_alu instid0(VALU_DEP_1)
	v_lshl_add_u64 v[0:1], v[4:5], 3, s[16:17]
	v_dual_mul_f32 v4, 0, v2 :: v_dual_mul_f32 v5, 0x80000000, v3
	global_load_b64 v[0:1], v[0:1], off
	s_wait_loadcnt 0x1
	v_dual_fmac_f32 v4, v3, v8 :: v_dual_fmac_f32 v5, v2, v8
	v_sub_nc_u64_e64 v[2:3], v[6:7], s[8:9]
	s_delay_alu instid0(VALU_DEP_1) | instskip(SKIP_1) | instid1(VALU_DEP_3)
	v_lshl_add_u64 v[2:3], v[2:3], 3, s[18:19]
	s_wait_loadcnt 0x0
	v_mul_f32_e64 v6, v1, -v4
	s_delay_alu instid0(VALU_DEP_1) | instskip(NEXT) | instid1(VALU_DEP_1)
	v_dual_mul_f32 v1, v5, v1 :: v_dual_fmac_f32 v6, v5, v0
	v_fmac_f32_e32 v1, v4, v0
	global_atomic_add_f32 v[2:3], v6, off scope:SCOPE_DEV
	s_wait_xcnt 0x0
	global_atomic_add_f32 v[2:3], v1, off offset:4 scope:SCOPE_DEV
.LBB62_3:
	s_endpgm
	.section	.rodata,"a",@progbits
	.p2align	6, 0x0
	.amdhsa_kernel _ZN9rocsparseL17coomvt_aos_kernelILj1024Elf21rocsparse_complex_numIfES2_S2_EEv20rocsparse_operation_lNS_24const_host_device_scalarIT4_EEPKT0_PKT1_PKT2_PT3_21rocsparse_index_base_b
		.amdhsa_group_segment_fixed_size 0
		.amdhsa_private_segment_fixed_size 0
		.amdhsa_kernarg_size 320
		.amdhsa_user_sgpr_count 2
		.amdhsa_user_sgpr_dispatch_ptr 0
		.amdhsa_user_sgpr_queue_ptr 0
		.amdhsa_user_sgpr_kernarg_segment_ptr 1
		.amdhsa_user_sgpr_dispatch_id 0
		.amdhsa_user_sgpr_kernarg_preload_length 0
		.amdhsa_user_sgpr_kernarg_preload_offset 0
		.amdhsa_user_sgpr_private_segment_size 0
		.amdhsa_wavefront_size32 1
		.amdhsa_uses_dynamic_stack 0
		.amdhsa_enable_private_segment 0
		.amdhsa_system_sgpr_workgroup_id_x 1
		.amdhsa_system_sgpr_workgroup_id_y 0
		.amdhsa_system_sgpr_workgroup_id_z 0
		.amdhsa_system_sgpr_workgroup_info 0
		.amdhsa_system_vgpr_workitem_id 0
		.amdhsa_next_free_vgpr 9
		.amdhsa_next_free_sgpr 20
		.amdhsa_named_barrier_count 0
		.amdhsa_reserve_vcc 1
		.amdhsa_float_round_mode_32 0
		.amdhsa_float_round_mode_16_64 0
		.amdhsa_float_denorm_mode_32 3
		.amdhsa_float_denorm_mode_16_64 3
		.amdhsa_fp16_overflow 0
		.amdhsa_memory_ordered 1
		.amdhsa_forward_progress 1
		.amdhsa_inst_pref_size 3
		.amdhsa_round_robin_scheduling 0
		.amdhsa_exception_fp_ieee_invalid_op 0
		.amdhsa_exception_fp_denorm_src 0
		.amdhsa_exception_fp_ieee_div_zero 0
		.amdhsa_exception_fp_ieee_overflow 0
		.amdhsa_exception_fp_ieee_underflow 0
		.amdhsa_exception_fp_ieee_inexact 0
		.amdhsa_exception_int_div_zero 0
	.end_amdhsa_kernel
	.section	.text._ZN9rocsparseL17coomvt_aos_kernelILj1024Elf21rocsparse_complex_numIfES2_S2_EEv20rocsparse_operation_lNS_24const_host_device_scalarIT4_EEPKT0_PKT1_PKT2_PT3_21rocsparse_index_base_b,"axG",@progbits,_ZN9rocsparseL17coomvt_aos_kernelILj1024Elf21rocsparse_complex_numIfES2_S2_EEv20rocsparse_operation_lNS_24const_host_device_scalarIT4_EEPKT0_PKT1_PKT2_PT3_21rocsparse_index_base_b,comdat
.Lfunc_end62:
	.size	_ZN9rocsparseL17coomvt_aos_kernelILj1024Elf21rocsparse_complex_numIfES2_S2_EEv20rocsparse_operation_lNS_24const_host_device_scalarIT4_EEPKT0_PKT1_PKT2_PT3_21rocsparse_index_base_b, .Lfunc_end62-_ZN9rocsparseL17coomvt_aos_kernelILj1024Elf21rocsparse_complex_numIfES2_S2_EEv20rocsparse_operation_lNS_24const_host_device_scalarIT4_EEPKT0_PKT1_PKT2_PT3_21rocsparse_index_base_b
                                        ; -- End function
	.set _ZN9rocsparseL17coomvt_aos_kernelILj1024Elf21rocsparse_complex_numIfES2_S2_EEv20rocsparse_operation_lNS_24const_host_device_scalarIT4_EEPKT0_PKT1_PKT2_PT3_21rocsparse_index_base_b.num_vgpr, 9
	.set _ZN9rocsparseL17coomvt_aos_kernelILj1024Elf21rocsparse_complex_numIfES2_S2_EEv20rocsparse_operation_lNS_24const_host_device_scalarIT4_EEPKT0_PKT1_PKT2_PT3_21rocsparse_index_base_b.num_agpr, 0
	.set _ZN9rocsparseL17coomvt_aos_kernelILj1024Elf21rocsparse_complex_numIfES2_S2_EEv20rocsparse_operation_lNS_24const_host_device_scalarIT4_EEPKT0_PKT1_PKT2_PT3_21rocsparse_index_base_b.numbered_sgpr, 20
	.set _ZN9rocsparseL17coomvt_aos_kernelILj1024Elf21rocsparse_complex_numIfES2_S2_EEv20rocsparse_operation_lNS_24const_host_device_scalarIT4_EEPKT0_PKT1_PKT2_PT3_21rocsparse_index_base_b.num_named_barrier, 0
	.set _ZN9rocsparseL17coomvt_aos_kernelILj1024Elf21rocsparse_complex_numIfES2_S2_EEv20rocsparse_operation_lNS_24const_host_device_scalarIT4_EEPKT0_PKT1_PKT2_PT3_21rocsparse_index_base_b.private_seg_size, 0
	.set _ZN9rocsparseL17coomvt_aos_kernelILj1024Elf21rocsparse_complex_numIfES2_S2_EEv20rocsparse_operation_lNS_24const_host_device_scalarIT4_EEPKT0_PKT1_PKT2_PT3_21rocsparse_index_base_b.uses_vcc, 1
	.set _ZN9rocsparseL17coomvt_aos_kernelILj1024Elf21rocsparse_complex_numIfES2_S2_EEv20rocsparse_operation_lNS_24const_host_device_scalarIT4_EEPKT0_PKT1_PKT2_PT3_21rocsparse_index_base_b.uses_flat_scratch, 0
	.set _ZN9rocsparseL17coomvt_aos_kernelILj1024Elf21rocsparse_complex_numIfES2_S2_EEv20rocsparse_operation_lNS_24const_host_device_scalarIT4_EEPKT0_PKT1_PKT2_PT3_21rocsparse_index_base_b.has_dyn_sized_stack, 0
	.set _ZN9rocsparseL17coomvt_aos_kernelILj1024Elf21rocsparse_complex_numIfES2_S2_EEv20rocsparse_operation_lNS_24const_host_device_scalarIT4_EEPKT0_PKT1_PKT2_PT3_21rocsparse_index_base_b.has_recursion, 0
	.set _ZN9rocsparseL17coomvt_aos_kernelILj1024Elf21rocsparse_complex_numIfES2_S2_EEv20rocsparse_operation_lNS_24const_host_device_scalarIT4_EEPKT0_PKT1_PKT2_PT3_21rocsparse_index_base_b.has_indirect_call, 0
	.section	.AMDGPU.csdata,"",@progbits
; Kernel info:
; codeLenInByte = 376
; TotalNumSgprs: 22
; NumVgprs: 9
; ScratchSize: 0
; MemoryBound: 0
; FloatMode: 240
; IeeeMode: 1
; LDSByteSize: 0 bytes/workgroup (compile time only)
; SGPRBlocks: 0
; VGPRBlocks: 0
; NumSGPRsForWavesPerEU: 22
; NumVGPRsForWavesPerEU: 9
; NamedBarCnt: 0
; Occupancy: 16
; WaveLimiterHint : 1
; COMPUTE_PGM_RSRC2:SCRATCH_EN: 0
; COMPUTE_PGM_RSRC2:USER_SGPR: 2
; COMPUTE_PGM_RSRC2:TRAP_HANDLER: 0
; COMPUTE_PGM_RSRC2:TGID_X_EN: 1
; COMPUTE_PGM_RSRC2:TGID_Y_EN: 0
; COMPUTE_PGM_RSRC2:TGID_Z_EN: 0
; COMPUTE_PGM_RSRC2:TIDIG_COMP_CNT: 0
	.section	.text._ZN9rocsparseL26coomvn_aos_segmented_loopsILj256Elf21rocsparse_complex_numIfES2_S2_EEvlT0_NS_24const_host_device_scalarIT4_EEPKS3_PKT1_PKT2_PT3_PS3_PS5_21rocsparse_index_base_b,"axG",@progbits,_ZN9rocsparseL26coomvn_aos_segmented_loopsILj256Elf21rocsparse_complex_numIfES2_S2_EEvlT0_NS_24const_host_device_scalarIT4_EEPKS3_PKT1_PKT2_PT3_PS3_PS5_21rocsparse_index_base_b,comdat
	.globl	_ZN9rocsparseL26coomvn_aos_segmented_loopsILj256Elf21rocsparse_complex_numIfES2_S2_EEvlT0_NS_24const_host_device_scalarIT4_EEPKS3_PKT1_PKT2_PT3_PS3_PS5_21rocsparse_index_base_b ; -- Begin function _ZN9rocsparseL26coomvn_aos_segmented_loopsILj256Elf21rocsparse_complex_numIfES2_S2_EEvlT0_NS_24const_host_device_scalarIT4_EEPKS3_PKT1_PKT2_PT3_PS3_PS5_21rocsparse_index_base_b
	.p2align	8
	.type	_ZN9rocsparseL26coomvn_aos_segmented_loopsILj256Elf21rocsparse_complex_numIfES2_S2_EEvlT0_NS_24const_host_device_scalarIT4_EEPKS3_PKT1_PKT2_PT3_PS3_PS5_21rocsparse_index_base_b,@function
_ZN9rocsparseL26coomvn_aos_segmented_loopsILj256Elf21rocsparse_complex_numIfES2_S2_EEvlT0_NS_24const_host_device_scalarIT4_EEPKS3_PKT1_PKT2_PT3_PS3_PS5_21rocsparse_index_base_b: ; @_ZN9rocsparseL26coomvn_aos_segmented_loopsILj256Elf21rocsparse_complex_numIfES2_S2_EEvlT0_NS_24const_host_device_scalarIT4_EEPKS3_PKT1_PKT2_PT3_PS3_PS5_21rocsparse_index_base_b
; %bb.0:
	s_clause 0x1
	s_load_b64 s[24:25], s[0:1], 0x48
	s_load_b64 s[2:3], s[0:1], 0x10
	v_mov_b32_e32 v1, 0
	s_add_nc_u64 s[4:5], s[0:1], 16
	s_mov_b32 s15, 0
	s_wait_kmcnt 0x0
	s_bitcmp1_b32 s25, 0
	s_cselect_b32 s3, s5, s3
	s_cselect_b32 s2, s4, s2
	flat_load_b64 v[2:3], v1, s[2:3]
	s_wait_loadcnt_dscnt 0x0
	v_cmp_neq_f32_e32 vcc_lo, 0, v2
	v_cmp_neq_f32_e64 s2, 0, v3
	s_or_b32 s2, vcc_lo, s2
	s_delay_alu instid0(SALU_CYCLE_1)
	s_and_saveexec_b32 s3, s2
	s_cbranch_execz .LBB63_87
; %bb.1:
	s_clause 0x1
	s_load_b128 s[16:19], s[0:1], 0x0
	s_load_b128 s[20:23], s[0:1], 0x18
	s_bfe_u32 s2, ttmp6, 0x4000c
	s_load_b64 s[28:29], s[0:1], 0x28
	s_add_co_i32 s2, s2, 1
	s_and_b32 s3, ttmp6, 15
	s_mul_i32 s2, ttmp9, s2
	s_getreg_b32 s4, hwreg(HW_REG_IB_STS2, 6, 4)
	s_add_co_i32 s3, s3, s2
	s_cmp_eq_u32 s4, 0
	v_mov_b64_e32 v[4:5], -1
	s_cselect_b32 s14, ttmp9, s3
	v_mov_b64_e32 v[6:7], 0
	s_wait_kmcnt 0x0
	s_mul_u64 s[30:31], s[14:15], s[18:19]
	s_delay_alu instid0(SALU_CYCLE_1) | instskip(NEXT) | instid1(SALU_CYCLE_1)
	s_lshl_b64 s[2:3], s[30:31], 8
	v_dual_mov_b32 v11, s3 :: v_dual_bitop2_b32 v10, s2, v0 bitop3:0x54
	s_mov_b32 s2, exec_lo
	s_delay_alu instid0(VALU_DEP_1)
	v_cmpx_gt_i64_e64 s[16:17], v[10:11]
	s_cbranch_execz .LBB63_3
; %bb.2:
	v_lshl_add_u64 v[4:5], v[10:11], 4, s[20:21]
	s_mov_b32 s25, 0
	v_lshl_add_u64 v[8:9], v[10:11], 2, s[22:23]
	v_bfrev_b32_e32 v12, 1
	global_load_b128 v[4:7], v[4:5], off th:TH_LOAD_NT
	s_wait_loadcnt 0x0
	v_lshl_add_u64 v[6:7], v[6:7], 3, s[28:29]
	v_sub_nc_u64_e64 v[4:5], v[4:5], s[24:25]
	s_ashr_i32 s25, s24, 31
	s_delay_alu instid0(SALU_CYCLE_1)
	s_lshl_b64 s[4:5], s[24:25], 3
	s_delay_alu instid0(VALU_DEP_2) | instid1(SALU_CYCLE_1)
	v_sub_nc_u64_e64 v[6:7], v[6:7], s[4:5]
	global_load_b32 v13, v[8:9], off th:TH_LOAD_NT
	global_load_b64 v[14:15], v[6:7], off
	s_wait_loadcnt 0x1
	s_wait_xcnt 0x0
	v_dual_mov_b32 v7, 0 :: v_dual_mov_b32 v6, v13
	s_wait_loadcnt 0x0
	v_pk_mul_f32 v[8:9], v[14:15], v[12:13] op_sel:[1,0]
	s_delay_alu instid0(VALU_DEP_1)
	v_pk_fma_f32 v[6:7], v[14:15], v[6:7], v[8:9] op_sel_hi:[0,1,1]
.LBB63_3:
	s_or_b32 exec_lo, exec_lo, s2
	v_lshlrev_b32_e32 v1, 3, v0
	v_cmp_eq_u32_e64 s2, 0, v0
	v_cmp_ne_u32_e64 s3, 0, v0
	s_delay_alu instid0(VALU_DEP_3)
	v_or_b32_e32 v22, 0x800, v1
	v_add_nc_u32_e32 v23, -8, v1
	ds_store_2addr_stride64_b64 v1, v[4:5], v[6:7] offset1:4
	s_wait_dscnt 0x0
	s_barrier_signal -1
	s_barrier_wait -1
	s_and_saveexec_b32 s4, s3
	s_cbranch_execz .LBB63_7
; %bb.4:
	ds_load_b64 v[8:9], v23
	s_mov_b32 s5, exec_lo
	s_wait_dscnt 0x0
	v_cmpx_eq_u64_e64 v[4:5], v[8:9]
	s_cbranch_execz .LBB63_6
; %bb.5:
	v_add_nc_u32_e32 v8, -8, v22
	ds_load_b64 v[8:9], v8
	s_wait_dscnt 0x0
	v_pk_add_f32 v[6:7], v[6:7], v[8:9]
.LBB63_6:
	s_or_b32 exec_lo, exec_lo, s5
.LBB63_7:
	s_delay_alu instid0(SALU_CYCLE_1)
	s_or_b32 exec_lo, exec_lo, s4
	v_cmp_lt_u32_e64 s4, 1, v0
	v_add_nc_u32_e32 v24, -16, v1
	s_barrier_signal -1
	s_barrier_wait -1
	ds_store_b64 v22, v[6:7]
	s_wait_dscnt 0x0
	s_barrier_signal -1
	s_barrier_wait -1
	s_and_saveexec_b32 s5, s4
	s_cbranch_execz .LBB63_11
; %bb.8:
	ds_load_b64 v[8:9], v24
	s_mov_b32 s6, exec_lo
	s_wait_dscnt 0x0
	v_cmpx_eq_u64_e64 v[4:5], v[8:9]
	s_cbranch_execz .LBB63_10
; %bb.9:
	v_add_nc_u32_e32 v8, -16, v22
	ds_load_b64 v[8:9], v8
	s_wait_dscnt 0x0
	v_pk_add_f32 v[6:7], v[6:7], v[8:9]
.LBB63_10:
	s_or_b32 exec_lo, exec_lo, s6
.LBB63_11:
	s_delay_alu instid0(SALU_CYCLE_1)
	s_or_b32 exec_lo, exec_lo, s5
	v_cmp_lt_u32_e64 s5, 3, v0
	v_subrev_nc_u32_e32 v25, 32, v1
	s_barrier_signal -1
	s_barrier_wait -1
	ds_store_b64 v22, v[6:7]
	s_wait_dscnt 0x0
	s_barrier_signal -1
	s_barrier_wait -1
	s_and_saveexec_b32 s6, s5
	s_cbranch_execz .LBB63_15
; %bb.12:
	ds_load_b64 v[8:9], v25
	s_mov_b32 s7, exec_lo
	s_wait_dscnt 0x0
	v_cmpx_eq_u64_e64 v[4:5], v[8:9]
	s_cbranch_execz .LBB63_14
; %bb.13:
	v_subrev_nc_u32_e32 v8, 32, v22
	ds_load_b64 v[8:9], v8
	s_wait_dscnt 0x0
	v_pk_add_f32 v[6:7], v[6:7], v[8:9]
.LBB63_14:
	s_or_b32 exec_lo, exec_lo, s7
.LBB63_15:
	s_delay_alu instid0(SALU_CYCLE_1)
	s_or_b32 exec_lo, exec_lo, s6
	v_cmp_lt_u32_e64 s6, 7, v0
	v_subrev_nc_u32_e32 v26, 64, v1
	s_barrier_signal -1
	s_barrier_wait -1
	ds_store_b64 v22, v[6:7]
	s_wait_dscnt 0x0
	s_barrier_signal -1
	s_barrier_wait -1
	s_and_saveexec_b32 s7, s6
	s_cbranch_execz .LBB63_19
; %bb.16:
	ds_load_b64 v[8:9], v26
	s_mov_b32 s8, exec_lo
	s_wait_dscnt 0x0
	v_cmpx_eq_u64_e64 v[4:5], v[8:9]
	s_cbranch_execz .LBB63_18
; %bb.17:
	v_subrev_nc_u32_e32 v8, 64, v22
	ds_load_b64 v[8:9], v8
	s_wait_dscnt 0x0
	v_pk_add_f32 v[6:7], v[6:7], v[8:9]
.LBB63_18:
	s_or_b32 exec_lo, exec_lo, s8
.LBB63_19:
	s_delay_alu instid0(SALU_CYCLE_1)
	s_or_b32 exec_lo, exec_lo, s7
	v_cmp_lt_u32_e64 s7, 15, v0
	v_add_nc_u32_e32 v27, 0xffffff80, v1
	s_barrier_signal -1
	s_barrier_wait -1
	ds_store_b64 v22, v[6:7]
	s_wait_dscnt 0x0
	s_barrier_signal -1
	s_barrier_wait -1
	s_and_saveexec_b32 s8, s7
	s_cbranch_execz .LBB63_23
; %bb.20:
	ds_load_b64 v[8:9], v27
	s_mov_b32 s9, exec_lo
	s_wait_dscnt 0x0
	v_cmpx_eq_u64_e64 v[4:5], v[8:9]
	s_cbranch_execz .LBB63_22
; %bb.21:
	v_add_nc_u32_e32 v8, 0xffffff80, v22
	ds_load_b64 v[8:9], v8
	s_wait_dscnt 0x0
	v_pk_add_f32 v[6:7], v[6:7], v[8:9]
.LBB63_22:
	s_or_b32 exec_lo, exec_lo, s9
.LBB63_23:
	s_delay_alu instid0(SALU_CYCLE_1)
	s_or_b32 exec_lo, exec_lo, s8
	v_cmp_lt_u32_e64 s8, 31, v0
	v_add_nc_u32_e32 v28, 0xffffff00, v1
	s_barrier_signal -1
	s_barrier_wait -1
	ds_store_b64 v22, v[6:7]
	s_wait_dscnt 0x0
	s_barrier_signal -1
	s_barrier_wait -1
	s_and_saveexec_b32 s9, s8
	s_cbranch_execz .LBB63_27
; %bb.24:
	ds_load_b64 v[8:9], v28
	s_mov_b32 s10, exec_lo
	s_wait_dscnt 0x0
	v_cmpx_eq_u64_e64 v[4:5], v[8:9]
	s_cbranch_execz .LBB63_26
; %bb.25:
	v_add_nc_u32_e32 v8, 0xffffff00, v22
	ds_load_b64 v[8:9], v8
	s_wait_dscnt 0x0
	v_pk_add_f32 v[6:7], v[6:7], v[8:9]
.LBB63_26:
	s_or_b32 exec_lo, exec_lo, s10
.LBB63_27:
	;; [unrolled: 26-line block ×4, first 2 shown]
	s_delay_alu instid0(SALU_CYCLE_1)
	s_or_b32 exec_lo, exec_lo, s11
	s_load_b64 s[26:27], s[0:1], 0x30
	v_cmp_gt_u32_e64 s11, 0xff, v0
	s_barrier_signal -1
	s_barrier_wait -1
	ds_store_b64 v22, v[6:7]
	s_wait_dscnt 0x0
	s_barrier_signal -1
	s_barrier_wait -1
	s_and_saveexec_b32 s13, s11
	s_cbranch_execz .LBB63_38
; %bb.36:
	ds_load_b64 v[8:9], v1 offset:8
	v_cmp_lt_i64_e64 s12, -1, v[4:5]
	s_wait_dscnt 0x0
	v_cmp_ne_u64_e32 vcc_lo, v[4:5], v[8:9]
	s_and_b32 s12, s12, vcc_lo
	s_delay_alu instid0(SALU_CYCLE_1)
	s_and_b32 exec_lo, exec_lo, s12
	s_cbranch_execz .LBB63_38
; %bb.37:
	s_wait_kmcnt 0x0
	v_lshl_add_u64 v[8:9], v[4:5], 3, s[26:27]
	v_xor_b32_e32 v14, 0x80000000, v3
	v_mov_b32_e32 v15, v2
	global_load_b64 v[12:13], v[8:9], off
	s_wait_loadcnt 0x0
	v_pk_fma_f32 v[12:13], v[2:3], v[6:7], v[12:13] op_sel_hi:[1,0,1]
	s_delay_alu instid0(VALU_DEP_1)
	v_pk_fma_f32 v[12:13], v[14:15], v[6:7], v[12:13] op_sel:[0,1,0]
	global_store_b64 v[8:9], v[12:13], off
.LBB63_38:
	s_wait_xcnt 0x0
	s_or_b32 exec_lo, exec_lo, s13
	v_cmp_lt_i64_e64 s12, s[18:19], 2
	v_xor_b32_e32 v8, 0x80000000, v3
	s_and_b32 vcc_lo, exec_lo, s12
	s_cbranch_vccnz .LBB63_85
; %bb.39:
	v_dual_mov_b32 v13, 0 :: v_dual_lshlrev_b32 v12, 2, v0
	s_lshl_b64 s[34:35], s[30:31], 10
	v_add_nc_u32_e32 v31, -8, v22
	s_add_nc_u64 s[22:23], s[22:23], s[34:35]
	v_add_nc_u64_e32 v[10:11], 0x100, v[10:11]
	v_add_nc_u64_e32 v[4:5], s[22:23], v[12:13]
	v_lshlrev_b32_e32 v12, 4, v0
	s_lshl_b64 s[22:23], s[30:31], 12
	s_ashr_i32 s13, s24, 31
	s_add_nc_u64 s[20:21], s[20:21], s[22:23]
	s_mov_b32 s12, s24
	v_add_nc_u64_e32 v[6:7], s[20:21], v[12:13]
	v_add_nc_u64_e32 v[14:15], 0x400, v[4:5]
	v_dual_mov_b32 v9, v2 :: v_dual_add_nc_u32 v32, -16, v22
	v_subrev_nc_u32_e32 v33, 32, v22
	v_subrev_nc_u32_e32 v34, 64, v22
	v_add_nc_u32_e32 v35, 0xffffff80, v22
	v_add_nc_u64_e32 v[16:17], 0x1000, v[6:7]
	v_add_nc_u32_e32 v36, 0xffffff00, v22
	v_add_nc_u32_e32 v37, 0xfffffe00, v22
	;; [unrolled: 1-line block ×3, first 2 shown]
	v_bfrev_b32_e32 v18, 1
	s_lshl_b64 s[12:13], s[12:13], 3
	s_add_nc_u64 s[18:19], s[18:19], -1
	s_mov_b32 s25, 0
	s_sub_nc_u64 s[20:21], s[28:29], s[12:13]
	s_mov_b64 s[22:23], 0
	s_branch .LBB63_41
.LBB63_40:                              ;   in Loop: Header=BB63_41 Depth=1
	s_wait_xcnt 0x0
	s_or_b32 exec_lo, exec_lo, s13
	s_add_nc_u64 s[22:23], s[22:23], 1
	v_add_nc_u64_e32 v[14:15], 0x400, v[14:15]
	v_cmp_le_u64_e64 s12, s[18:19], s[22:23]
	v_add_nc_u64_e32 v[16:17], 0x1000, v[16:17]
	v_add_nc_u64_e32 v[10:11], 0x100, v[10:11]
	s_and_b32 vcc_lo, exec_lo, s12
	s_cbranch_vccnz .LBB63_85
.LBB63_41:                              ; =>This Inner Loop Header: Depth=1
	v_mov_b64_e32 v[4:5], -1
	v_mov_b64_e32 v[6:7], 0
	s_mov_b32 s12, exec_lo
	s_delay_alu instid0(VALU_DEP_3)
	v_cmpx_gt_i64_e64 s[16:17], v[10:11]
	s_cbranch_execz .LBB63_43
; %bb.42:                               ;   in Loop: Header=BB63_41 Depth=1
	global_load_b128 v[4:7], v[16:17], off th:TH_LOAD_NT
	s_wait_loadcnt 0x0
	v_lshl_add_u64 v[6:7], v[6:7], 3, s[20:21]
	v_sub_nc_u64_e64 v[4:5], v[4:5], s[24:25]
	global_load_b32 v19, v[14:15], off th:TH_LOAD_NT
	global_load_b64 v[20:21], v[6:7], off
	s_wait_loadcnt 0x1
	v_mov_b32_e32 v12, v19
	s_wait_loadcnt 0x0
	v_pk_mul_f32 v[6:7], v[20:21], v[18:19] op_sel:[1,0]
	s_delay_alu instid0(VALU_DEP_1)
	v_pk_fma_f32 v[6:7], v[20:21], v[12:13], v[6:7] op_sel_hi:[0,1,1]
.LBB63_43:                              ;   in Loop: Header=BB63_41 Depth=1
	s_or_b32 exec_lo, exec_lo, s12
	s_and_saveexec_b32 s12, s2
	s_cbranch_execz .LBB63_50
; %bb.44:                               ;   in Loop: Header=BB63_41 Depth=1
	ds_load_b64 v[20:21], v13 offset:2040
	s_mov_b32 s13, exec_lo
	s_wait_dscnt 0x0
	v_cmpx_ne_u64_e64 v[4:5], v[20:21]
	s_xor_b32 s13, exec_lo, s13
	s_cbranch_execz .LBB63_47
; %bb.45:                               ;   in Loop: Header=BB63_41 Depth=1
	v_cmp_gt_i64_e32 vcc_lo, 0, v[20:21]
	s_cbranch_vccnz .LBB63_47
; %bb.46:                               ;   in Loop: Header=BB63_41 Depth=1
	v_lshlrev_b64_e32 v[20:21], 3, v[20:21]
	ds_load_b64 v[42:43], v13 offset:4088
	s_wait_kmcnt 0x0
	v_add_nc_u64_e32 v[20:21], s[26:27], v[20:21]
	global_load_b64 v[40:41], v[20:21], off
	s_wait_loadcnt_dscnt 0x0
	v_pk_fma_f32 v[40:41], v[2:3], v[42:43], v[40:41] op_sel_hi:[1,0,1]
	s_delay_alu instid0(VALU_DEP_1)
	v_pk_fma_f32 v[40:41], v[8:9], v[42:43], v[40:41] op_sel:[0,1,0]
	global_store_b64 v[20:21], v[40:41], off
.LBB63_47:                              ;   in Loop: Header=BB63_41 Depth=1
	s_wait_xcnt 0x0
	s_and_not1_saveexec_b32 s13, s13
	s_cbranch_execz .LBB63_49
; %bb.48:                               ;   in Loop: Header=BB63_41 Depth=1
	ds_load_b64 v[20:21], v13 offset:4088
	s_wait_dscnt 0x0
	v_pk_add_f32 v[6:7], v[6:7], v[20:21]
.LBB63_49:                              ;   in Loop: Header=BB63_41 Depth=1
	s_or_b32 exec_lo, exec_lo, s13
.LBB63_50:                              ;   in Loop: Header=BB63_41 Depth=1
	s_delay_alu instid0(SALU_CYCLE_1)
	s_or_b32 exec_lo, exec_lo, s12
	s_wait_storecnt 0x0
	s_barrier_signal -1
	s_barrier_wait -1
	ds_store_b64 v1, v[4:5]
	ds_store_b64 v22, v[6:7]
	s_wait_dscnt 0x0
	s_barrier_signal -1
	s_barrier_wait -1
	s_and_saveexec_b32 s12, s3
	s_cbranch_execz .LBB63_54
; %bb.51:                               ;   in Loop: Header=BB63_41 Depth=1
	ds_load_b64 v[20:21], v23
	s_mov_b32 s13, exec_lo
	s_wait_dscnt 0x0
	v_cmpx_eq_u64_e64 v[4:5], v[20:21]
	s_cbranch_execz .LBB63_53
; %bb.52:                               ;   in Loop: Header=BB63_41 Depth=1
	ds_load_b64 v[20:21], v31
	s_wait_dscnt 0x0
	v_pk_add_f32 v[6:7], v[6:7], v[20:21]
.LBB63_53:                              ;   in Loop: Header=BB63_41 Depth=1
	s_or_b32 exec_lo, exec_lo, s13
.LBB63_54:                              ;   in Loop: Header=BB63_41 Depth=1
	s_delay_alu instid0(SALU_CYCLE_1)
	s_or_b32 exec_lo, exec_lo, s12
	s_barrier_signal -1
	s_barrier_wait -1
	ds_store_b64 v22, v[6:7]
	s_wait_dscnt 0x0
	s_barrier_signal -1
	s_barrier_wait -1
	s_and_saveexec_b32 s12, s4
	s_cbranch_execz .LBB63_58
; %bb.55:                               ;   in Loop: Header=BB63_41 Depth=1
	ds_load_b64 v[20:21], v24
	s_mov_b32 s13, exec_lo
	s_wait_dscnt 0x0
	v_cmpx_eq_u64_e64 v[4:5], v[20:21]
	s_cbranch_execz .LBB63_57
; %bb.56:                               ;   in Loop: Header=BB63_41 Depth=1
	ds_load_b64 v[20:21], v32
	s_wait_dscnt 0x0
	v_pk_add_f32 v[6:7], v[6:7], v[20:21]
.LBB63_57:                              ;   in Loop: Header=BB63_41 Depth=1
	s_or_b32 exec_lo, exec_lo, s13
.LBB63_58:                              ;   in Loop: Header=BB63_41 Depth=1
	s_delay_alu instid0(SALU_CYCLE_1)
	s_or_b32 exec_lo, exec_lo, s12
	s_barrier_signal -1
	s_barrier_wait -1
	;; [unrolled: 23-line block ×8, first 2 shown]
	ds_store_b64 v22, v[6:7]
	s_wait_dscnt 0x0
	s_barrier_signal -1
	s_barrier_wait -1
	s_and_saveexec_b32 s13, s11
	s_cbranch_execz .LBB63_40
; %bb.83:                               ;   in Loop: Header=BB63_41 Depth=1
	ds_load_b64 v[20:21], v1 offset:8
	v_cmp_lt_i64_e64 s12, -1, v[4:5]
	s_wait_dscnt 0x0
	v_cmp_ne_u64_e32 vcc_lo, v[4:5], v[20:21]
	s_and_b32 s12, s12, vcc_lo
	s_delay_alu instid0(SALU_CYCLE_1)
	s_and_b32 exec_lo, exec_lo, s12
	s_cbranch_execz .LBB63_40
; %bb.84:                               ;   in Loop: Header=BB63_41 Depth=1
	s_wait_kmcnt 0x0
	v_lshl_add_u64 v[20:21], v[4:5], 3, s[26:27]
	global_load_b64 v[40:41], v[20:21], off
	s_wait_loadcnt 0x0
	v_pk_fma_f32 v[40:41], v[2:3], v[6:7], v[40:41] op_sel_hi:[1,0,1]
	s_delay_alu instid0(VALU_DEP_1)
	v_pk_fma_f32 v[40:41], v[8:9], v[6:7], v[40:41] op_sel:[0,1,0]
	global_store_b64 v[20:21], v[40:41], off
	s_branch .LBB63_40
.LBB63_85:
	s_load_b128 s[0:3], s[0:1], 0x38
	v_cmp_eq_u32_e32 vcc_lo, 0xff, v0
	s_and_b32 exec_lo, exec_lo, vcc_lo
	s_cbranch_execz .LBB63_87
; %bb.86:
	v_mov_b32_e32 v9, v2
	s_lshl_b64 s[4:5], s[14:15], 3
	s_wait_kmcnt 0x0
	s_add_nc_u64 s[0:1], s[0:1], s[4:5]
	s_add_nc_u64 s[2:3], s[2:3], s[4:5]
	v_pk_mul_f32 v[0:1], v[6:7], v[8:9] op_sel:[1,0]
	v_mov_b32_e32 v8, 0
	s_delay_alu instid0(VALU_DEP_2)
	v_pk_fma_f32 v[0:1], v[2:3], v[6:7], v[0:1] op_sel_hi:[1,0,1]
	s_clause 0x1
	global_store_b64 v8, v[4:5], s[0:1] th:TH_STORE_NT
	global_store_b64 v8, v[0:1], s[2:3] th:TH_STORE_NT
.LBB63_87:
	s_endpgm
	.section	.rodata,"a",@progbits
	.p2align	6, 0x0
	.amdhsa_kernel _ZN9rocsparseL26coomvn_aos_segmented_loopsILj256Elf21rocsparse_complex_numIfES2_S2_EEvlT0_NS_24const_host_device_scalarIT4_EEPKS3_PKT1_PKT2_PT3_PS3_PS5_21rocsparse_index_base_b
		.amdhsa_group_segment_fixed_size 4096
		.amdhsa_private_segment_fixed_size 0
		.amdhsa_kernarg_size 80
		.amdhsa_user_sgpr_count 2
		.amdhsa_user_sgpr_dispatch_ptr 0
		.amdhsa_user_sgpr_queue_ptr 0
		.amdhsa_user_sgpr_kernarg_segment_ptr 1
		.amdhsa_user_sgpr_dispatch_id 0
		.amdhsa_user_sgpr_kernarg_preload_length 0
		.amdhsa_user_sgpr_kernarg_preload_offset 0
		.amdhsa_user_sgpr_private_segment_size 0
		.amdhsa_wavefront_size32 1
		.amdhsa_uses_dynamic_stack 0
		.amdhsa_enable_private_segment 0
		.amdhsa_system_sgpr_workgroup_id_x 1
		.amdhsa_system_sgpr_workgroup_id_y 0
		.amdhsa_system_sgpr_workgroup_id_z 0
		.amdhsa_system_sgpr_workgroup_info 0
		.amdhsa_system_vgpr_workitem_id 0
		.amdhsa_next_free_vgpr 44
		.amdhsa_next_free_sgpr 36
		.amdhsa_named_barrier_count 0
		.amdhsa_reserve_vcc 1
		.amdhsa_float_round_mode_32 0
		.amdhsa_float_round_mode_16_64 0
		.amdhsa_float_denorm_mode_32 3
		.amdhsa_float_denorm_mode_16_64 3
		.amdhsa_fp16_overflow 0
		.amdhsa_memory_ordered 1
		.amdhsa_forward_progress 1
		.amdhsa_inst_pref_size 24
		.amdhsa_round_robin_scheduling 0
		.amdhsa_exception_fp_ieee_invalid_op 0
		.amdhsa_exception_fp_denorm_src 0
		.amdhsa_exception_fp_ieee_div_zero 0
		.amdhsa_exception_fp_ieee_overflow 0
		.amdhsa_exception_fp_ieee_underflow 0
		.amdhsa_exception_fp_ieee_inexact 0
		.amdhsa_exception_int_div_zero 0
	.end_amdhsa_kernel
	.section	.text._ZN9rocsparseL26coomvn_aos_segmented_loopsILj256Elf21rocsparse_complex_numIfES2_S2_EEvlT0_NS_24const_host_device_scalarIT4_EEPKS3_PKT1_PKT2_PT3_PS3_PS5_21rocsparse_index_base_b,"axG",@progbits,_ZN9rocsparseL26coomvn_aos_segmented_loopsILj256Elf21rocsparse_complex_numIfES2_S2_EEvlT0_NS_24const_host_device_scalarIT4_EEPKS3_PKT1_PKT2_PT3_PS3_PS5_21rocsparse_index_base_b,comdat
.Lfunc_end63:
	.size	_ZN9rocsparseL26coomvn_aos_segmented_loopsILj256Elf21rocsparse_complex_numIfES2_S2_EEvlT0_NS_24const_host_device_scalarIT4_EEPKS3_PKT1_PKT2_PT3_PS3_PS5_21rocsparse_index_base_b, .Lfunc_end63-_ZN9rocsparseL26coomvn_aos_segmented_loopsILj256Elf21rocsparse_complex_numIfES2_S2_EEvlT0_NS_24const_host_device_scalarIT4_EEPKS3_PKT1_PKT2_PT3_PS3_PS5_21rocsparse_index_base_b
                                        ; -- End function
	.set _ZN9rocsparseL26coomvn_aos_segmented_loopsILj256Elf21rocsparse_complex_numIfES2_S2_EEvlT0_NS_24const_host_device_scalarIT4_EEPKS3_PKT1_PKT2_PT3_PS3_PS5_21rocsparse_index_base_b.num_vgpr, 44
	.set _ZN9rocsparseL26coomvn_aos_segmented_loopsILj256Elf21rocsparse_complex_numIfES2_S2_EEvlT0_NS_24const_host_device_scalarIT4_EEPKS3_PKT1_PKT2_PT3_PS3_PS5_21rocsparse_index_base_b.num_agpr, 0
	.set _ZN9rocsparseL26coomvn_aos_segmented_loopsILj256Elf21rocsparse_complex_numIfES2_S2_EEvlT0_NS_24const_host_device_scalarIT4_EEPKS3_PKT1_PKT2_PT3_PS3_PS5_21rocsparse_index_base_b.numbered_sgpr, 36
	.set _ZN9rocsparseL26coomvn_aos_segmented_loopsILj256Elf21rocsparse_complex_numIfES2_S2_EEvlT0_NS_24const_host_device_scalarIT4_EEPKS3_PKT1_PKT2_PT3_PS3_PS5_21rocsparse_index_base_b.num_named_barrier, 0
	.set _ZN9rocsparseL26coomvn_aos_segmented_loopsILj256Elf21rocsparse_complex_numIfES2_S2_EEvlT0_NS_24const_host_device_scalarIT4_EEPKS3_PKT1_PKT2_PT3_PS3_PS5_21rocsparse_index_base_b.private_seg_size, 0
	.set _ZN9rocsparseL26coomvn_aos_segmented_loopsILj256Elf21rocsparse_complex_numIfES2_S2_EEvlT0_NS_24const_host_device_scalarIT4_EEPKS3_PKT1_PKT2_PT3_PS3_PS5_21rocsparse_index_base_b.uses_vcc, 1
	.set _ZN9rocsparseL26coomvn_aos_segmented_loopsILj256Elf21rocsparse_complex_numIfES2_S2_EEvlT0_NS_24const_host_device_scalarIT4_EEPKS3_PKT1_PKT2_PT3_PS3_PS5_21rocsparse_index_base_b.uses_flat_scratch, 0
	.set _ZN9rocsparseL26coomvn_aos_segmented_loopsILj256Elf21rocsparse_complex_numIfES2_S2_EEvlT0_NS_24const_host_device_scalarIT4_EEPKS3_PKT1_PKT2_PT3_PS3_PS5_21rocsparse_index_base_b.has_dyn_sized_stack, 0
	.set _ZN9rocsparseL26coomvn_aos_segmented_loopsILj256Elf21rocsparse_complex_numIfES2_S2_EEvlT0_NS_24const_host_device_scalarIT4_EEPKS3_PKT1_PKT2_PT3_PS3_PS5_21rocsparse_index_base_b.has_recursion, 0
	.set _ZN9rocsparseL26coomvn_aos_segmented_loopsILj256Elf21rocsparse_complex_numIfES2_S2_EEvlT0_NS_24const_host_device_scalarIT4_EEPKS3_PKT1_PKT2_PT3_PS3_PS5_21rocsparse_index_base_b.has_indirect_call, 0
	.section	.AMDGPU.csdata,"",@progbits
; Kernel info:
; codeLenInByte = 3008
; TotalNumSgprs: 38
; NumVgprs: 44
; ScratchSize: 0
; MemoryBound: 0
; FloatMode: 240
; IeeeMode: 1
; LDSByteSize: 4096 bytes/workgroup (compile time only)
; SGPRBlocks: 0
; VGPRBlocks: 2
; NumSGPRsForWavesPerEU: 38
; NumVGPRsForWavesPerEU: 44
; NamedBarCnt: 0
; Occupancy: 16
; WaveLimiterHint : 1
; COMPUTE_PGM_RSRC2:SCRATCH_EN: 0
; COMPUTE_PGM_RSRC2:USER_SGPR: 2
; COMPUTE_PGM_RSRC2:TRAP_HANDLER: 0
; COMPUTE_PGM_RSRC2:TGID_X_EN: 1
; COMPUTE_PGM_RSRC2:TGID_Y_EN: 0
; COMPUTE_PGM_RSRC2:TGID_Z_EN: 0
; COMPUTE_PGM_RSRC2:TIDIG_COMP_CNT: 0
	.section	.text._ZN9rocsparseL23coomvn_aos_atomic_loopsILj256ELj1Eid21rocsparse_complex_numIdES2_S2_EEvlNS_24const_host_device_scalarIT5_EEPKT1_PKT2_PKT3_PT4_21rocsparse_index_base_b,"axG",@progbits,_ZN9rocsparseL23coomvn_aos_atomic_loopsILj256ELj1Eid21rocsparse_complex_numIdES2_S2_EEvlNS_24const_host_device_scalarIT5_EEPKT1_PKT2_PKT3_PT4_21rocsparse_index_base_b,comdat
	.globl	_ZN9rocsparseL23coomvn_aos_atomic_loopsILj256ELj1Eid21rocsparse_complex_numIdES2_S2_EEvlNS_24const_host_device_scalarIT5_EEPKT1_PKT2_PKT3_PT4_21rocsparse_index_base_b ; -- Begin function _ZN9rocsparseL23coomvn_aos_atomic_loopsILj256ELj1Eid21rocsparse_complex_numIdES2_S2_EEvlNS_24const_host_device_scalarIT5_EEPKT1_PKT2_PKT3_PT4_21rocsparse_index_base_b
	.p2align	8
	.type	_ZN9rocsparseL23coomvn_aos_atomic_loopsILj256ELj1Eid21rocsparse_complex_numIdES2_S2_EEvlNS_24const_host_device_scalarIT5_EEPKT1_PKT2_PKT3_PT4_21rocsparse_index_base_b,@function
_ZN9rocsparseL23coomvn_aos_atomic_loopsILj256ELj1Eid21rocsparse_complex_numIdES2_S2_EEvlNS_24const_host_device_scalarIT5_EEPKT1_PKT2_PKT3_PT4_21rocsparse_index_base_b: ; @_ZN9rocsparseL23coomvn_aos_atomic_loopsILj256ELj1Eid21rocsparse_complex_numIdES2_S2_EEvlNS_24const_host_device_scalarIT5_EEPKT1_PKT2_PKT3_PT4_21rocsparse_index_base_b
; %bb.0:
	s_clause 0x1
	s_load_b64 s[8:9], s[0:1], 0x38
	s_load_b128 s[4:7], s[0:1], 0x0
	v_mov_b32_e32 v13, 0
	s_or_b64 s[2:3], s[0:1], 8
	s_wait_kmcnt 0x0
	s_bitcmp1_b32 s9, 0
	s_cselect_b32 s3, s3, s7
	s_cselect_b32 s2, s2, s6
	flat_load_b128 v[2:5], v13, s[2:3]
	s_wait_loadcnt_dscnt 0x0
	v_cmp_neq_f64_e32 vcc_lo, 0, v[2:3]
	v_cmp_neq_f64_e64 s2, 0, v[4:5]
	s_or_b32 s2, vcc_lo, s2
	s_delay_alu instid0(SALU_CYCLE_1)
	s_and_saveexec_b32 s3, s2
	s_cbranch_execz .LBB64_40
; %bb.1:
	s_bfe_u32 s2, ttmp6, 0x4000c
	v_mov_b64_e32 v[6:7], 0
	s_add_co_i32 s2, s2, 1
	s_and_b32 s3, ttmp6, 15
	s_mul_i32 s2, ttmp9, s2
	s_getreg_b32 s6, hwreg(HW_REG_IB_STS2, 6, 4)
	s_add_co_i32 s3, s3, s2
	s_cmp_eq_u32 s6, 0
	v_mov_b64_e32 v[8:9], v[6:7]
	s_cselect_b32 s2, ttmp9, s3
	v_mov_b32_e32 v10, -1
	v_lshl_or_b32 v12, s2, 8, v0
	s_mov_b32 s2, exec_lo
	s_delay_alu instid0(VALU_DEP_1)
	v_cmpx_gt_i64_e64 s[4:5], v[12:13]
	s_cbranch_execz .LBB64_3
; %bb.2:
	s_clause 0x1
	s_load_b128 s[4:7], s[0:1], 0x18
	s_load_b64 s[10:11], s[0:1], 0x28
	v_lshlrev_b64_e32 v[6:7], 3, v[12:13]
	s_wait_kmcnt 0x0
	s_delay_alu instid0(VALU_DEP_1)
	v_add_nc_u64_e32 v[8:9], s[4:5], v[6:7]
	v_add_nc_u64_e32 v[6:7], s[6:7], v[6:7]
	global_load_b64 v[14:15], v[8:9], off th:TH_LOAD_NT
	s_wait_loadcnt 0x0
	v_subrev_nc_u32_e32 v1, s8, v15
	global_load_b128 v[10:13], v1, s[10:11] scale_offset
	global_load_b64 v[16:17], v[6:7], off th:TH_LOAD_NT
	s_wait_loadcnt 0x1
	s_wait_xcnt 0x0
	v_mul_f64_e32 v[6:7], 0x80000000, v[12:13]
	s_wait_loadcnt 0x0
	v_mul_f64_e32 v[8:9], v[16:17], v[12:13]
	s_delay_alu instid0(VALU_DEP_2) | instskip(NEXT) | instid1(VALU_DEP_2)
	v_fmac_f64_e32 v[6:7], v[16:17], v[10:11]
	v_fmac_f64_e32 v[8:9], 0, v[10:11]
	v_subrev_nc_u32_e32 v10, s8, v14
.LBB64_3:
	s_or_b32 exec_lo, exec_lo, s2
	v_dual_lshlrev_b32 v12, 2, v0 :: v_dual_lshlrev_b32 v11, 4, v0
	s_mov_b32 s2, exec_lo
	ds_store_b32 v12, v10 offset:4096
	ds_store_b128 v11, v[6:9]
	v_or_b32_e32 v1, 0x1000, v12
	s_wait_dscnt 0x0
	s_barrier_signal -1
	s_barrier_wait -1
	v_cmpx_ne_u32_e32 0, v0
	s_cbranch_execz .LBB64_7
; %bb.4:
	v_add_nc_u32_e32 v12, -4, v1
	s_mov_b32 s3, exec_lo
	ds_load_b32 v12, v12
	s_wait_dscnt 0x0
	v_cmpx_eq_u32_e64 v10, v12
	s_cbranch_execz .LBB64_6
; %bb.5:
	v_add_nc_u32_e32 v12, -16, v11
	ds_load_b128 v[12:15], v12
	s_wait_dscnt 0x0
	v_add_f64_e32 v[6:7], v[6:7], v[12:13]
	v_add_f64_e32 v[8:9], v[8:9], v[14:15]
.LBB64_6:
	s_or_b32 exec_lo, exec_lo, s3
.LBB64_7:
	s_delay_alu instid0(SALU_CYCLE_1) | instskip(NEXT) | instid1(SALU_CYCLE_1)
	s_or_b32 exec_lo, exec_lo, s2
	s_mov_b32 s2, exec_lo
	s_barrier_signal -1
	s_barrier_wait -1
	ds_store_b128 v11, v[6:9]
	s_wait_dscnt 0x0
	s_barrier_signal -1
	s_barrier_wait -1
	v_cmpx_lt_u32_e32 1, v0
	s_cbranch_execz .LBB64_11
; %bb.8:
	v_add_nc_u32_e32 v12, -8, v1
	s_mov_b32 s3, exec_lo
	ds_load_b32 v12, v12
	s_wait_dscnt 0x0
	v_cmpx_eq_u32_e64 v10, v12
	s_cbranch_execz .LBB64_10
; %bb.9:
	v_subrev_nc_u32_e32 v12, 32, v11
	ds_load_b128 v[12:15], v12
	s_wait_dscnt 0x0
	v_add_f64_e32 v[6:7], v[6:7], v[12:13]
	v_add_f64_e32 v[8:9], v[8:9], v[14:15]
.LBB64_10:
	s_or_b32 exec_lo, exec_lo, s3
.LBB64_11:
	s_delay_alu instid0(SALU_CYCLE_1) | instskip(NEXT) | instid1(SALU_CYCLE_1)
	s_or_b32 exec_lo, exec_lo, s2
	s_mov_b32 s2, exec_lo
	s_barrier_signal -1
	s_barrier_wait -1
	ds_store_b128 v11, v[6:9]
	s_wait_dscnt 0x0
	s_barrier_signal -1
	s_barrier_wait -1
	v_cmpx_lt_u32_e32 3, v0
	s_cbranch_execz .LBB64_15
; %bb.12:
	v_add_nc_u32_e32 v12, -16, v1
	s_mov_b32 s3, exec_lo
	ds_load_b32 v12, v12
	s_wait_dscnt 0x0
	v_cmpx_eq_u32_e64 v10, v12
	s_cbranch_execz .LBB64_14
; %bb.13:
	v_subrev_nc_u32_e32 v12, 64, v11
	ds_load_b128 v[12:15], v12
	s_wait_dscnt 0x0
	v_add_f64_e32 v[6:7], v[6:7], v[12:13]
	v_add_f64_e32 v[8:9], v[8:9], v[14:15]
.LBB64_14:
	s_or_b32 exec_lo, exec_lo, s3
.LBB64_15:
	s_delay_alu instid0(SALU_CYCLE_1) | instskip(NEXT) | instid1(SALU_CYCLE_1)
	s_or_b32 exec_lo, exec_lo, s2
	s_mov_b32 s2, exec_lo
	s_barrier_signal -1
	s_barrier_wait -1
	ds_store_b128 v11, v[6:9]
	s_wait_dscnt 0x0
	s_barrier_signal -1
	s_barrier_wait -1
	v_cmpx_lt_u32_e32 7, v0
	s_cbranch_execz .LBB64_19
; %bb.16:
	v_subrev_nc_u32_e32 v12, 32, v1
	s_mov_b32 s3, exec_lo
	ds_load_b32 v12, v12
	s_wait_dscnt 0x0
	v_cmpx_eq_u32_e64 v10, v12
	s_cbranch_execz .LBB64_18
; %bb.17:
	v_add_nc_u32_e32 v12, 0xffffff80, v11
	ds_load_b128 v[12:15], v12
	s_wait_dscnt 0x0
	v_add_f64_e32 v[6:7], v[6:7], v[12:13]
	v_add_f64_e32 v[8:9], v[8:9], v[14:15]
.LBB64_18:
	s_or_b32 exec_lo, exec_lo, s3
.LBB64_19:
	s_delay_alu instid0(SALU_CYCLE_1) | instskip(NEXT) | instid1(SALU_CYCLE_1)
	s_or_b32 exec_lo, exec_lo, s2
	s_mov_b32 s2, exec_lo
	s_barrier_signal -1
	s_barrier_wait -1
	ds_store_b128 v11, v[6:9]
	s_wait_dscnt 0x0
	s_barrier_signal -1
	s_barrier_wait -1
	v_cmpx_lt_u32_e32 15, v0
	s_cbranch_execz .LBB64_23
; %bb.20:
	v_subrev_nc_u32_e32 v12, 64, v1
	s_mov_b32 s3, exec_lo
	ds_load_b32 v12, v12
	s_wait_dscnt 0x0
	v_cmpx_eq_u32_e64 v10, v12
	s_cbranch_execz .LBB64_22
; %bb.21:
	v_add_nc_u32_e32 v12, 0xffffff00, v11
	ds_load_b128 v[12:15], v12
	s_wait_dscnt 0x0
	v_add_f64_e32 v[6:7], v[6:7], v[12:13]
	v_add_f64_e32 v[8:9], v[8:9], v[14:15]
.LBB64_22:
	s_or_b32 exec_lo, exec_lo, s3
.LBB64_23:
	s_delay_alu instid0(SALU_CYCLE_1) | instskip(NEXT) | instid1(SALU_CYCLE_1)
	s_or_b32 exec_lo, exec_lo, s2
	s_mov_b32 s2, exec_lo
	s_barrier_signal -1
	s_barrier_wait -1
	ds_store_b128 v11, v[6:9]
	s_wait_dscnt 0x0
	s_barrier_signal -1
	s_barrier_wait -1
	v_cmpx_lt_u32_e32 31, v0
	s_cbranch_execz .LBB64_27
; %bb.24:
	v_add_nc_u32_e32 v12, 0xffffff80, v1
	s_mov_b32 s3, exec_lo
	ds_load_b32 v12, v12
	s_wait_dscnt 0x0
	v_cmpx_eq_u32_e64 v10, v12
	s_cbranch_execz .LBB64_26
; %bb.25:
	v_add_nc_u32_e32 v12, 0xfffffe00, v11
	ds_load_b128 v[12:15], v12
	s_wait_dscnt 0x0
	v_add_f64_e32 v[6:7], v[6:7], v[12:13]
	v_add_f64_e32 v[8:9], v[8:9], v[14:15]
.LBB64_26:
	s_or_b32 exec_lo, exec_lo, s3
.LBB64_27:
	s_delay_alu instid0(SALU_CYCLE_1) | instskip(NEXT) | instid1(SALU_CYCLE_1)
	s_or_b32 exec_lo, exec_lo, s2
	s_mov_b32 s2, exec_lo
	s_barrier_signal -1
	s_barrier_wait -1
	ds_store_b128 v11, v[6:9]
	s_wait_dscnt 0x0
	s_barrier_signal -1
	s_barrier_wait -1
	v_cmpx_lt_u32_e32 63, v0
	s_cbranch_execz .LBB64_31
; %bb.28:
	v_add_nc_u32_e32 v12, 0xffffff00, v1
	s_mov_b32 s3, exec_lo
	ds_load_b32 v12, v12
	s_wait_dscnt 0x0
	v_cmpx_eq_u32_e64 v10, v12
	s_cbranch_execz .LBB64_30
; %bb.29:
	v_add_nc_u32_e32 v12, 0xfffffc00, v11
	ds_load_b128 v[12:15], v12
	s_wait_dscnt 0x0
	v_add_f64_e32 v[6:7], v[6:7], v[12:13]
	v_add_f64_e32 v[8:9], v[8:9], v[14:15]
.LBB64_30:
	s_or_b32 exec_lo, exec_lo, s3
.LBB64_31:
	s_delay_alu instid0(SALU_CYCLE_1)
	s_or_b32 exec_lo, exec_lo, s2
	s_load_b64 s[2:3], s[0:1], 0x30
	s_wait_xcnt 0x0
	s_mov_b32 s0, exec_lo
	s_barrier_signal -1
	s_barrier_wait -1
	ds_store_b128 v11, v[6:9]
	s_wait_dscnt 0x0
	s_barrier_signal -1
	s_barrier_wait -1
	v_cmpx_lt_u32_e32 0x7f, v0
	s_cbranch_execz .LBB64_35
; %bb.32:
	v_add_nc_u32_e32 v12, 0xfffffe00, v1
	s_mov_b32 s1, exec_lo
	ds_load_b32 v12, v12
	s_wait_dscnt 0x0
	v_cmpx_eq_u32_e64 v10, v12
	s_cbranch_execz .LBB64_34
; %bb.33:
	v_add_nc_u32_e32 v12, 0xfffff800, v11
	ds_load_b128 v[12:15], v12
	s_wait_dscnt 0x0
	v_add_f64_e32 v[6:7], v[6:7], v[12:13]
	v_add_f64_e32 v[8:9], v[8:9], v[14:15]
.LBB64_34:
	s_or_b32 exec_lo, exec_lo, s1
.LBB64_35:
	s_delay_alu instid0(SALU_CYCLE_1) | instskip(NEXT) | instid1(SALU_CYCLE_1)
	s_or_b32 exec_lo, exec_lo, s0
	s_mov_b32 s1, exec_lo
	s_barrier_signal -1
	s_barrier_wait -1
	ds_store_b128 v11, v[6:9]
	s_wait_dscnt 0x0
	s_barrier_signal -1
	s_barrier_wait -1
	v_cmpx_gt_u32_e32 0xff, v0
	s_cbranch_execz .LBB64_38
; %bb.36:
	ds_load_b32 v1, v1 offset:4
	v_cmp_lt_i32_e64 s0, -1, v10
	s_wait_dscnt 0x0
	v_cmp_ne_u32_e32 vcc_lo, v10, v1
	s_and_b32 s0, s0, vcc_lo
	s_delay_alu instid0(SALU_CYCLE_1)
	s_and_b32 exec_lo, exec_lo, s0
	s_cbranch_execz .LBB64_38
; %bb.37:
	v_dual_mul_f64 v[12:13], v[8:9], -v[4:5] :: v_dual_mov_b32 v11, 0
	v_mul_f64_e32 v[14:15], v[2:3], v[8:9]
	s_wait_kmcnt 0x0
	s_delay_alu instid0(VALU_DEP_2) | instskip(NEXT) | instid1(VALU_DEP_3)
	v_lshl_add_u64 v[16:17], v[10:11], 4, s[2:3]
	v_fmac_f64_e32 v[12:13], v[2:3], v[6:7]
	s_delay_alu instid0(VALU_DEP_3)
	v_fmac_f64_e32 v[14:15], v[4:5], v[6:7]
	global_atomic_add_f64 v[16:17], v[12:13], off scope:SCOPE_DEV
	s_wait_xcnt 0x0
	global_atomic_add_f64 v[16:17], v[14:15], off offset:8 scope:SCOPE_DEV
.LBB64_38:
	s_wait_xcnt 0x0
	s_or_b32 exec_lo, exec_lo, s1
	v_cmp_eq_u32_e32 vcc_lo, 0xff, v0
	v_cmp_lt_i32_e64 s0, -1, v10
	s_and_b32 s0, vcc_lo, s0
	s_delay_alu instid0(SALU_CYCLE_1)
	s_and_b32 exec_lo, exec_lo, s0
	s_cbranch_execz .LBB64_40
; %bb.39:
	v_dual_mul_f64 v[0:1], v[8:9], -v[4:5] :: v_dual_mov_b32 v11, 0
	v_mul_f64_e32 v[8:9], v[2:3], v[8:9]
	s_delay_alu instid0(VALU_DEP_2) | instskip(SKIP_1) | instid1(VALU_DEP_3)
	v_fmac_f64_e32 v[0:1], v[2:3], v[6:7]
	s_wait_kmcnt 0x0
	v_lshl_add_u64 v[2:3], v[10:11], 4, s[2:3]
	s_delay_alu instid0(VALU_DEP_3)
	v_fmac_f64_e32 v[8:9], v[4:5], v[6:7]
	global_atomic_add_f64 v[2:3], v[0:1], off scope:SCOPE_DEV
	s_wait_xcnt 0x0
	global_atomic_add_f64 v[2:3], v[8:9], off offset:8 scope:SCOPE_DEV
.LBB64_40:
	s_endpgm
	.section	.rodata,"a",@progbits
	.p2align	6, 0x0
	.amdhsa_kernel _ZN9rocsparseL23coomvn_aos_atomic_loopsILj256ELj1Eid21rocsparse_complex_numIdES2_S2_EEvlNS_24const_host_device_scalarIT5_EEPKT1_PKT2_PKT3_PT4_21rocsparse_index_base_b
		.amdhsa_group_segment_fixed_size 5120
		.amdhsa_private_segment_fixed_size 0
		.amdhsa_kernarg_size 64
		.amdhsa_user_sgpr_count 2
		.amdhsa_user_sgpr_dispatch_ptr 0
		.amdhsa_user_sgpr_queue_ptr 0
		.amdhsa_user_sgpr_kernarg_segment_ptr 1
		.amdhsa_user_sgpr_dispatch_id 0
		.amdhsa_user_sgpr_kernarg_preload_length 0
		.amdhsa_user_sgpr_kernarg_preload_offset 0
		.amdhsa_user_sgpr_private_segment_size 0
		.amdhsa_wavefront_size32 1
		.amdhsa_uses_dynamic_stack 0
		.amdhsa_enable_private_segment 0
		.amdhsa_system_sgpr_workgroup_id_x 1
		.amdhsa_system_sgpr_workgroup_id_y 0
		.amdhsa_system_sgpr_workgroup_id_z 0
		.amdhsa_system_sgpr_workgroup_info 0
		.amdhsa_system_vgpr_workitem_id 0
		.amdhsa_next_free_vgpr 18
		.amdhsa_next_free_sgpr 12
		.amdhsa_named_barrier_count 0
		.amdhsa_reserve_vcc 1
		.amdhsa_float_round_mode_32 0
		.amdhsa_float_round_mode_16_64 0
		.amdhsa_float_denorm_mode_32 3
		.amdhsa_float_denorm_mode_16_64 3
		.amdhsa_fp16_overflow 0
		.amdhsa_memory_ordered 1
		.amdhsa_forward_progress 1
		.amdhsa_inst_pref_size 12
		.amdhsa_round_robin_scheduling 0
		.amdhsa_exception_fp_ieee_invalid_op 0
		.amdhsa_exception_fp_denorm_src 0
		.amdhsa_exception_fp_ieee_div_zero 0
		.amdhsa_exception_fp_ieee_overflow 0
		.amdhsa_exception_fp_ieee_underflow 0
		.amdhsa_exception_fp_ieee_inexact 0
		.amdhsa_exception_int_div_zero 0
	.end_amdhsa_kernel
	.section	.text._ZN9rocsparseL23coomvn_aos_atomic_loopsILj256ELj1Eid21rocsparse_complex_numIdES2_S2_EEvlNS_24const_host_device_scalarIT5_EEPKT1_PKT2_PKT3_PT4_21rocsparse_index_base_b,"axG",@progbits,_ZN9rocsparseL23coomvn_aos_atomic_loopsILj256ELj1Eid21rocsparse_complex_numIdES2_S2_EEvlNS_24const_host_device_scalarIT5_EEPKT1_PKT2_PKT3_PT4_21rocsparse_index_base_b,comdat
.Lfunc_end64:
	.size	_ZN9rocsparseL23coomvn_aos_atomic_loopsILj256ELj1Eid21rocsparse_complex_numIdES2_S2_EEvlNS_24const_host_device_scalarIT5_EEPKT1_PKT2_PKT3_PT4_21rocsparse_index_base_b, .Lfunc_end64-_ZN9rocsparseL23coomvn_aos_atomic_loopsILj256ELj1Eid21rocsparse_complex_numIdES2_S2_EEvlNS_24const_host_device_scalarIT5_EEPKT1_PKT2_PKT3_PT4_21rocsparse_index_base_b
                                        ; -- End function
	.set _ZN9rocsparseL23coomvn_aos_atomic_loopsILj256ELj1Eid21rocsparse_complex_numIdES2_S2_EEvlNS_24const_host_device_scalarIT5_EEPKT1_PKT2_PKT3_PT4_21rocsparse_index_base_b.num_vgpr, 18
	.set _ZN9rocsparseL23coomvn_aos_atomic_loopsILj256ELj1Eid21rocsparse_complex_numIdES2_S2_EEvlNS_24const_host_device_scalarIT5_EEPKT1_PKT2_PKT3_PT4_21rocsparse_index_base_b.num_agpr, 0
	.set _ZN9rocsparseL23coomvn_aos_atomic_loopsILj256ELj1Eid21rocsparse_complex_numIdES2_S2_EEvlNS_24const_host_device_scalarIT5_EEPKT1_PKT2_PKT3_PT4_21rocsparse_index_base_b.numbered_sgpr, 12
	.set _ZN9rocsparseL23coomvn_aos_atomic_loopsILj256ELj1Eid21rocsparse_complex_numIdES2_S2_EEvlNS_24const_host_device_scalarIT5_EEPKT1_PKT2_PKT3_PT4_21rocsparse_index_base_b.num_named_barrier, 0
	.set _ZN9rocsparseL23coomvn_aos_atomic_loopsILj256ELj1Eid21rocsparse_complex_numIdES2_S2_EEvlNS_24const_host_device_scalarIT5_EEPKT1_PKT2_PKT3_PT4_21rocsparse_index_base_b.private_seg_size, 0
	.set _ZN9rocsparseL23coomvn_aos_atomic_loopsILj256ELj1Eid21rocsparse_complex_numIdES2_S2_EEvlNS_24const_host_device_scalarIT5_EEPKT1_PKT2_PKT3_PT4_21rocsparse_index_base_b.uses_vcc, 1
	.set _ZN9rocsparseL23coomvn_aos_atomic_loopsILj256ELj1Eid21rocsparse_complex_numIdES2_S2_EEvlNS_24const_host_device_scalarIT5_EEPKT1_PKT2_PKT3_PT4_21rocsparse_index_base_b.uses_flat_scratch, 0
	.set _ZN9rocsparseL23coomvn_aos_atomic_loopsILj256ELj1Eid21rocsparse_complex_numIdES2_S2_EEvlNS_24const_host_device_scalarIT5_EEPKT1_PKT2_PKT3_PT4_21rocsparse_index_base_b.has_dyn_sized_stack, 0
	.set _ZN9rocsparseL23coomvn_aos_atomic_loopsILj256ELj1Eid21rocsparse_complex_numIdES2_S2_EEvlNS_24const_host_device_scalarIT5_EEPKT1_PKT2_PKT3_PT4_21rocsparse_index_base_b.has_recursion, 0
	.set _ZN9rocsparseL23coomvn_aos_atomic_loopsILj256ELj1Eid21rocsparse_complex_numIdES2_S2_EEvlNS_24const_host_device_scalarIT5_EEPKT1_PKT2_PKT3_PT4_21rocsparse_index_base_b.has_indirect_call, 0
	.section	.AMDGPU.csdata,"",@progbits
; Kernel info:
; codeLenInByte = 1496
; TotalNumSgprs: 14
; NumVgprs: 18
; ScratchSize: 0
; MemoryBound: 0
; FloatMode: 240
; IeeeMode: 1
; LDSByteSize: 5120 bytes/workgroup (compile time only)
; SGPRBlocks: 0
; VGPRBlocks: 1
; NumSGPRsForWavesPerEU: 14
; NumVGPRsForWavesPerEU: 18
; NamedBarCnt: 0
; Occupancy: 16
; WaveLimiterHint : 1
; COMPUTE_PGM_RSRC2:SCRATCH_EN: 0
; COMPUTE_PGM_RSRC2:USER_SGPR: 2
; COMPUTE_PGM_RSRC2:TRAP_HANDLER: 0
; COMPUTE_PGM_RSRC2:TGID_X_EN: 1
; COMPUTE_PGM_RSRC2:TGID_Y_EN: 0
; COMPUTE_PGM_RSRC2:TGID_Z_EN: 0
; COMPUTE_PGM_RSRC2:TIDIG_COMP_CNT: 0
	.section	.text._ZN9rocsparseL17coomvt_aos_kernelILj1024Eid21rocsparse_complex_numIdES2_S2_EEv20rocsparse_operation_lNS_24const_host_device_scalarIT4_EEPKT0_PKT1_PKT2_PT3_21rocsparse_index_base_b,"axG",@progbits,_ZN9rocsparseL17coomvt_aos_kernelILj1024Eid21rocsparse_complex_numIdES2_S2_EEv20rocsparse_operation_lNS_24const_host_device_scalarIT4_EEPKT0_PKT1_PKT2_PT3_21rocsparse_index_base_b,comdat
	.globl	_ZN9rocsparseL17coomvt_aos_kernelILj1024Eid21rocsparse_complex_numIdES2_S2_EEv20rocsparse_operation_lNS_24const_host_device_scalarIT4_EEPKT0_PKT1_PKT2_PT3_21rocsparse_index_base_b ; -- Begin function _ZN9rocsparseL17coomvt_aos_kernelILj1024Eid21rocsparse_complex_numIdES2_S2_EEv20rocsparse_operation_lNS_24const_host_device_scalarIT4_EEPKT0_PKT1_PKT2_PT3_21rocsparse_index_base_b
	.p2align	8
	.type	_ZN9rocsparseL17coomvt_aos_kernelILj1024Eid21rocsparse_complex_numIdES2_S2_EEv20rocsparse_operation_lNS_24const_host_device_scalarIT4_EEPKT0_PKT1_PKT2_PT3_21rocsparse_index_base_b,@function
_ZN9rocsparseL17coomvt_aos_kernelILj1024Eid21rocsparse_complex_numIdES2_S2_EEv20rocsparse_operation_lNS_24const_host_device_scalarIT4_EEPKT0_PKT1_PKT2_PT3_21rocsparse_index_base_b: ; @_ZN9rocsparseL17coomvt_aos_kernelILj1024Eid21rocsparse_complex_numIdES2_S2_EEv20rocsparse_operation_lNS_24const_host_device_scalarIT4_EEPKT0_PKT1_PKT2_PT3_21rocsparse_index_base_b
; %bb.0:
	s_clause 0x1
	s_load_b64 s[8:9], s[0:1], 0x40
	s_load_b128 s[4:7], s[0:1], 0x8
	v_mov_b32_e32 v1, 0
	s_add_nc_u64 s[2:3], s[0:1], 16
	s_wait_kmcnt 0x0
	s_bitcmp1_b32 s9, 0
	s_cselect_b32 s3, s3, s7
	s_cselect_b32 s2, s2, s6
	flat_load_b128 v[2:5], v1, s[2:3]
	s_wait_loadcnt_dscnt 0x0
	v_cmp_neq_f64_e32 vcc_lo, 0, v[2:3]
	v_cmp_neq_f64_e64 s2, 0, v[4:5]
	s_or_b32 s2, vcc_lo, s2
	s_delay_alu instid0(SALU_CYCLE_1)
	s_and_saveexec_b32 s3, s2
	s_cbranch_execz .LBB65_3
; %bb.1:
	s_load_b32 s2, s[0:1], 0x54
	s_bfe_u32 s3, ttmp6, 0x4000c
	s_and_b32 s6, ttmp6, 15
	s_add_co_i32 s3, s3, 1
	s_getreg_b32 s7, hwreg(HW_REG_IB_STS2, 6, 4)
	s_mul_i32 s3, ttmp9, s3
	s_delay_alu instid0(SALU_CYCLE_1) | instskip(SKIP_4) | instid1(SALU_CYCLE_1)
	s_add_co_i32 s6, s6, s3
	s_wait_kmcnt 0x0
	s_and_b32 s2, s2, 0xffff
	s_cmp_eq_u32 s7, 0
	s_cselect_b32 s3, ttmp9, s6
	v_mad_u32 v0, s3, s2, v0
	s_delay_alu instid0(VALU_DEP_1)
	v_cmp_gt_i64_e32 vcc_lo, s[4:5], v[0:1]
	s_and_b32 exec_lo, exec_lo, vcc_lo
	s_cbranch_execz .LBB65_3
; %bb.2:
	s_load_b256 s[12:19], s[0:1], 0x20
	v_lshlrev_b64_e32 v[0:1], 3, v[0:1]
	v_mul_f64_e32 v[12:13], 0, v[2:3]
	v_mul_f64_e32 v[14:15], 0x80000000, v[4:5]
	s_wait_kmcnt 0x0
	s_delay_alu instid0(VALU_DEP_3)
	v_add_nc_u64_e32 v[6:7], s[12:13], v[0:1]
	v_add_nc_u64_e32 v[0:1], s[14:15], v[0:1]
	global_load_b64 v[10:11], v[6:7], off
	global_load_b64 v[0:1], v[0:1], off
	s_wait_loadcnt 0x1
	s_wait_xcnt 0x1
	v_subrev_nc_u32_e32 v6, s8, v10
	s_wait_loadcnt 0x0
	v_fmac_f64_e32 v[12:13], v[4:5], v[0:1]
	v_fmac_f64_e32 v[14:15], v[2:3], v[0:1]
	v_subrev_nc_u32_e32 v4, s8, v11
	global_load_b128 v[6:9], v6, s[16:17] scale_offset
	v_ashrrev_i32_e32 v5, 31, v4
	s_delay_alu instid0(VALU_DEP_1) | instskip(SKIP_3) | instid1(VALU_DEP_2)
	v_lshl_add_u64 v[4:5], v[4:5], 4, s[18:19]
	s_wait_loadcnt 0x0
	v_mul_f64_e64 v[0:1], v[8:9], -v[12:13]
	v_mul_f64_e32 v[2:3], v[14:15], v[8:9]
	v_fmac_f64_e32 v[0:1], v[14:15], v[6:7]
	s_delay_alu instid0(VALU_DEP_2)
	v_fmac_f64_e32 v[2:3], v[12:13], v[6:7]
	global_atomic_add_f64 v[4:5], v[0:1], off scope:SCOPE_DEV
	s_wait_xcnt 0x0
	global_atomic_add_f64 v[4:5], v[2:3], off offset:8 scope:SCOPE_DEV
.LBB65_3:
	s_endpgm
	.section	.rodata,"a",@progbits
	.p2align	6, 0x0
	.amdhsa_kernel _ZN9rocsparseL17coomvt_aos_kernelILj1024Eid21rocsparse_complex_numIdES2_S2_EEv20rocsparse_operation_lNS_24const_host_device_scalarIT4_EEPKT0_PKT1_PKT2_PT3_21rocsparse_index_base_b
		.amdhsa_group_segment_fixed_size 0
		.amdhsa_private_segment_fixed_size 0
		.amdhsa_kernarg_size 328
		.amdhsa_user_sgpr_count 2
		.amdhsa_user_sgpr_dispatch_ptr 0
		.amdhsa_user_sgpr_queue_ptr 0
		.amdhsa_user_sgpr_kernarg_segment_ptr 1
		.amdhsa_user_sgpr_dispatch_id 0
		.amdhsa_user_sgpr_kernarg_preload_length 0
		.amdhsa_user_sgpr_kernarg_preload_offset 0
		.amdhsa_user_sgpr_private_segment_size 0
		.amdhsa_wavefront_size32 1
		.amdhsa_uses_dynamic_stack 0
		.amdhsa_enable_private_segment 0
		.amdhsa_system_sgpr_workgroup_id_x 1
		.amdhsa_system_sgpr_workgroup_id_y 0
		.amdhsa_system_sgpr_workgroup_id_z 0
		.amdhsa_system_sgpr_workgroup_info 0
		.amdhsa_system_vgpr_workitem_id 0
		.amdhsa_next_free_vgpr 16
		.amdhsa_next_free_sgpr 20
		.amdhsa_named_barrier_count 0
		.amdhsa_reserve_vcc 1
		.amdhsa_float_round_mode_32 0
		.amdhsa_float_round_mode_16_64 0
		.amdhsa_float_denorm_mode_32 3
		.amdhsa_float_denorm_mode_16_64 3
		.amdhsa_fp16_overflow 0
		.amdhsa_memory_ordered 1
		.amdhsa_forward_progress 1
		.amdhsa_inst_pref_size 3
		.amdhsa_round_robin_scheduling 0
		.amdhsa_exception_fp_ieee_invalid_op 0
		.amdhsa_exception_fp_denorm_src 0
		.amdhsa_exception_fp_ieee_div_zero 0
		.amdhsa_exception_fp_ieee_overflow 0
		.amdhsa_exception_fp_ieee_underflow 0
		.amdhsa_exception_fp_ieee_inexact 0
		.amdhsa_exception_int_div_zero 0
	.end_amdhsa_kernel
	.section	.text._ZN9rocsparseL17coomvt_aos_kernelILj1024Eid21rocsparse_complex_numIdES2_S2_EEv20rocsparse_operation_lNS_24const_host_device_scalarIT4_EEPKT0_PKT1_PKT2_PT3_21rocsparse_index_base_b,"axG",@progbits,_ZN9rocsparseL17coomvt_aos_kernelILj1024Eid21rocsparse_complex_numIdES2_S2_EEv20rocsparse_operation_lNS_24const_host_device_scalarIT4_EEPKT0_PKT1_PKT2_PT3_21rocsparse_index_base_b,comdat
.Lfunc_end65:
	.size	_ZN9rocsparseL17coomvt_aos_kernelILj1024Eid21rocsparse_complex_numIdES2_S2_EEv20rocsparse_operation_lNS_24const_host_device_scalarIT4_EEPKT0_PKT1_PKT2_PT3_21rocsparse_index_base_b, .Lfunc_end65-_ZN9rocsparseL17coomvt_aos_kernelILj1024Eid21rocsparse_complex_numIdES2_S2_EEv20rocsparse_operation_lNS_24const_host_device_scalarIT4_EEPKT0_PKT1_PKT2_PT3_21rocsparse_index_base_b
                                        ; -- End function
	.set _ZN9rocsparseL17coomvt_aos_kernelILj1024Eid21rocsparse_complex_numIdES2_S2_EEv20rocsparse_operation_lNS_24const_host_device_scalarIT4_EEPKT0_PKT1_PKT2_PT3_21rocsparse_index_base_b.num_vgpr, 16
	.set _ZN9rocsparseL17coomvt_aos_kernelILj1024Eid21rocsparse_complex_numIdES2_S2_EEv20rocsparse_operation_lNS_24const_host_device_scalarIT4_EEPKT0_PKT1_PKT2_PT3_21rocsparse_index_base_b.num_agpr, 0
	.set _ZN9rocsparseL17coomvt_aos_kernelILj1024Eid21rocsparse_complex_numIdES2_S2_EEv20rocsparse_operation_lNS_24const_host_device_scalarIT4_EEPKT0_PKT1_PKT2_PT3_21rocsparse_index_base_b.numbered_sgpr, 20
	.set _ZN9rocsparseL17coomvt_aos_kernelILj1024Eid21rocsparse_complex_numIdES2_S2_EEv20rocsparse_operation_lNS_24const_host_device_scalarIT4_EEPKT0_PKT1_PKT2_PT3_21rocsparse_index_base_b.num_named_barrier, 0
	.set _ZN9rocsparseL17coomvt_aos_kernelILj1024Eid21rocsparse_complex_numIdES2_S2_EEv20rocsparse_operation_lNS_24const_host_device_scalarIT4_EEPKT0_PKT1_PKT2_PT3_21rocsparse_index_base_b.private_seg_size, 0
	.set _ZN9rocsparseL17coomvt_aos_kernelILj1024Eid21rocsparse_complex_numIdES2_S2_EEv20rocsparse_operation_lNS_24const_host_device_scalarIT4_EEPKT0_PKT1_PKT2_PT3_21rocsparse_index_base_b.uses_vcc, 1
	.set _ZN9rocsparseL17coomvt_aos_kernelILj1024Eid21rocsparse_complex_numIdES2_S2_EEv20rocsparse_operation_lNS_24const_host_device_scalarIT4_EEPKT0_PKT1_PKT2_PT3_21rocsparse_index_base_b.uses_flat_scratch, 0
	.set _ZN9rocsparseL17coomvt_aos_kernelILj1024Eid21rocsparse_complex_numIdES2_S2_EEv20rocsparse_operation_lNS_24const_host_device_scalarIT4_EEPKT0_PKT1_PKT2_PT3_21rocsparse_index_base_b.has_dyn_sized_stack, 0
	.set _ZN9rocsparseL17coomvt_aos_kernelILj1024Eid21rocsparse_complex_numIdES2_S2_EEv20rocsparse_operation_lNS_24const_host_device_scalarIT4_EEPKT0_PKT1_PKT2_PT3_21rocsparse_index_base_b.has_recursion, 0
	.set _ZN9rocsparseL17coomvt_aos_kernelILj1024Eid21rocsparse_complex_numIdES2_S2_EEv20rocsparse_operation_lNS_24const_host_device_scalarIT4_EEPKT0_PKT1_PKT2_PT3_21rocsparse_index_base_b.has_indirect_call, 0
	.section	.AMDGPU.csdata,"",@progbits
; Kernel info:
; codeLenInByte = 352
; TotalNumSgprs: 22
; NumVgprs: 16
; ScratchSize: 0
; MemoryBound: 0
; FloatMode: 240
; IeeeMode: 1
; LDSByteSize: 0 bytes/workgroup (compile time only)
; SGPRBlocks: 0
; VGPRBlocks: 0
; NumSGPRsForWavesPerEU: 22
; NumVGPRsForWavesPerEU: 16
; NamedBarCnt: 0
; Occupancy: 16
; WaveLimiterHint : 1
; COMPUTE_PGM_RSRC2:SCRATCH_EN: 0
; COMPUTE_PGM_RSRC2:USER_SGPR: 2
; COMPUTE_PGM_RSRC2:TRAP_HANDLER: 0
; COMPUTE_PGM_RSRC2:TGID_X_EN: 1
; COMPUTE_PGM_RSRC2:TGID_Y_EN: 0
; COMPUTE_PGM_RSRC2:TGID_Z_EN: 0
; COMPUTE_PGM_RSRC2:TIDIG_COMP_CNT: 0
	.section	.text._ZN9rocsparseL26coomvn_aos_segmented_loopsILj256Eid21rocsparse_complex_numIdES2_S2_EEvlT0_NS_24const_host_device_scalarIT4_EEPKS3_PKT1_PKT2_PT3_PS3_PS5_21rocsparse_index_base_b,"axG",@progbits,_ZN9rocsparseL26coomvn_aos_segmented_loopsILj256Eid21rocsparse_complex_numIdES2_S2_EEvlT0_NS_24const_host_device_scalarIT4_EEPKS3_PKT1_PKT2_PT3_PS3_PS5_21rocsparse_index_base_b,comdat
	.globl	_ZN9rocsparseL26coomvn_aos_segmented_loopsILj256Eid21rocsparse_complex_numIdES2_S2_EEvlT0_NS_24const_host_device_scalarIT4_EEPKS3_PKT1_PKT2_PT3_PS3_PS5_21rocsparse_index_base_b ; -- Begin function _ZN9rocsparseL26coomvn_aos_segmented_loopsILj256Eid21rocsparse_complex_numIdES2_S2_EEvlT0_NS_24const_host_device_scalarIT4_EEPKS3_PKT1_PKT2_PT3_PS3_PS5_21rocsparse_index_base_b
	.p2align	8
	.type	_ZN9rocsparseL26coomvn_aos_segmented_loopsILj256Eid21rocsparse_complex_numIdES2_S2_EEvlT0_NS_24const_host_device_scalarIT4_EEPKS3_PKT1_PKT2_PT3_PS3_PS5_21rocsparse_index_base_b,@function
_ZN9rocsparseL26coomvn_aos_segmented_loopsILj256Eid21rocsparse_complex_numIdES2_S2_EEvlT0_NS_24const_host_device_scalarIT4_EEPKS3_PKT1_PKT2_PT3_PS3_PS5_21rocsparse_index_base_b: ; @_ZN9rocsparseL26coomvn_aos_segmented_loopsILj256Eid21rocsparse_complex_numIdES2_S2_EEvlT0_NS_24const_host_device_scalarIT4_EEPKS3_PKT1_PKT2_PT3_PS3_PS5_21rocsparse_index_base_b
; %bb.0:
	s_clause 0x1
	s_load_b64 s[24:25], s[0:1], 0x50
	s_load_b64 s[2:3], s[0:1], 0x10
	v_mov_b32_e32 v11, 0
	s_add_nc_u64 s[4:5], s[0:1], 16
	s_wait_kmcnt 0x0
	s_bitcmp1_b32 s25, 0
	s_cselect_b32 s3, s5, s3
	s_cselect_b32 s2, s4, s2
	flat_load_b128 v[2:5], v11, s[2:3]
	s_wait_loadcnt_dscnt 0x0
	v_cmp_neq_f64_e32 vcc_lo, 0, v[2:3]
	v_cmp_neq_f64_e64 s2, 0, v[4:5]
	s_or_b32 s2, vcc_lo, s2
	s_delay_alu instid0(SALU_CYCLE_1)
	s_and_saveexec_b32 s3, s2
	s_cbranch_execz .LBB66_87
; %bb.1:
	s_clause 0x2
	s_load_b96 s[20:22], s[0:1], 0x0
	s_load_b128 s[16:19], s[0:1], 0x20
	s_load_b64 s[28:29], s[0:1], 0x30
	s_bfe_u32 s2, ttmp6, 0x4000c
	s_and_b32 s3, ttmp6, 15
	s_add_co_i32 s2, s2, 1
	v_mov_b64_e32 v[6:7], 0
	s_mul_i32 s2, ttmp9, s2
	s_getreg_b32 s4, hwreg(HW_REG_IB_STS2, 6, 4)
	s_add_co_i32 s3, s3, s2
	s_cmp_eq_u32 s4, 0
	v_mov_b32_e32 v17, -1
	s_cselect_b32 s23, ttmp9, s3
	v_mov_b64_e32 v[8:9], v[6:7]
	s_wait_kmcnt 0x0
	s_mul_i32 s2, s23, s22
	s_delay_alu instid0(SALU_CYCLE_1) | instskip(SKIP_1) | instid1(VALU_DEP_1)
	v_lshl_or_b32 v10, s2, 8, v0
	s_mov_b32 s2, exec_lo
	v_cmpx_gt_i64_e64 s[20:21], v[10:11]
	s_cbranch_execz .LBB66_3
; %bb.2:
	v_lshlrev_b64_e32 v[6:7], 3, v[10:11]
	s_ashr_i32 s25, s24, 31
	s_delay_alu instid0(SALU_CYCLE_1) | instskip(NEXT) | instid1(VALU_DEP_1)
	s_lshl_b64 s[4:5], s[24:25], 4
	v_add_nc_u64_e32 v[8:9], s[16:17], v[6:7]
	v_add_nc_u64_e32 v[6:7], s[18:19], v[6:7]
	global_load_b64 v[16:17], v[8:9], off th:TH_LOAD_NT
	s_wait_loadcnt 0x0
	v_dual_mov_b32 v8, v17 :: v_dual_ashrrev_i32 v9, 31, v17
	v_subrev_nc_u32_e32 v17, s24, v16
	s_delay_alu instid0(VALU_DEP_2) | instskip(NEXT) | instid1(VALU_DEP_1)
	v_lshl_add_u64 v[8:9], v[8:9], 4, s[28:29]
	v_sub_nc_u64_e64 v[8:9], v[8:9], s[4:5]
	global_load_b128 v[12:15], v[8:9], off
	global_load_b64 v[18:19], v[6:7], off th:TH_LOAD_NT
	s_wait_loadcnt 0x1
	s_wait_xcnt 0x0
	v_mul_f64_e32 v[6:7], 0x80000000, v[14:15]
	s_wait_loadcnt 0x0
	v_mul_f64_e32 v[8:9], v[18:19], v[14:15]
	s_delay_alu instid0(VALU_DEP_2) | instskip(NEXT) | instid1(VALU_DEP_2)
	v_fmac_f64_e32 v[6:7], v[18:19], v[12:13]
	v_fmac_f64_e32 v[8:9], 0, v[12:13]
.LBB66_3:
	s_or_b32 exec_lo, exec_lo, s2
	v_dual_lshlrev_b32 v12, 2, v0 :: v_dual_lshlrev_b32 v1, 4, v0
	v_cmp_eq_u32_e64 s2, 0, v0
	v_cmp_ne_u32_e64 s3, 0, v0
	ds_store_b32 v12, v17 offset:4096
	ds_store_b128 v1, v[6:9]
	v_or_b32_e32 v16, 0x1000, v12
	s_wait_dscnt 0x0
	s_barrier_signal -1
	s_barrier_wait -1
	s_delay_alu instid0(VALU_DEP_1)
	v_add_nc_u32_e32 v18, -4, v16
	s_and_saveexec_b32 s4, s3
	s_cbranch_execz .LBB66_7
; %bb.4:
	ds_load_b32 v12, v18
	s_mov_b32 s5, exec_lo
	s_wait_dscnt 0x0
	v_cmpx_eq_u32_e64 v17, v12
	s_cbranch_execz .LBB66_6
; %bb.5:
	v_add_nc_u32_e32 v12, -16, v1
	ds_load_b128 v[12:15], v12
	s_wait_dscnt 0x0
	v_add_f64_e32 v[6:7], v[6:7], v[12:13]
	v_add_f64_e32 v[8:9], v[8:9], v[14:15]
.LBB66_6:
	s_or_b32 exec_lo, exec_lo, s5
.LBB66_7:
	s_delay_alu instid0(SALU_CYCLE_1)
	s_or_b32 exec_lo, exec_lo, s4
	v_cmp_lt_u32_e64 s4, 1, v0
	v_add_nc_u32_e32 v19, -8, v16
	s_barrier_signal -1
	s_barrier_wait -1
	ds_store_b128 v1, v[6:9]
	s_wait_dscnt 0x0
	s_barrier_signal -1
	s_barrier_wait -1
	s_and_saveexec_b32 s5, s4
	s_cbranch_execz .LBB66_11
; %bb.8:
	ds_load_b32 v12, v19
	s_mov_b32 s6, exec_lo
	s_wait_dscnt 0x0
	v_cmpx_eq_u32_e64 v17, v12
	s_cbranch_execz .LBB66_10
; %bb.9:
	v_subrev_nc_u32_e32 v12, 32, v1
	ds_load_b128 v[12:15], v12
	s_wait_dscnt 0x0
	v_add_f64_e32 v[6:7], v[6:7], v[12:13]
	v_add_f64_e32 v[8:9], v[8:9], v[14:15]
.LBB66_10:
	s_or_b32 exec_lo, exec_lo, s6
.LBB66_11:
	s_delay_alu instid0(SALU_CYCLE_1)
	s_or_b32 exec_lo, exec_lo, s5
	v_cmp_lt_u32_e64 s5, 3, v0
	v_add_nc_u32_e32 v20, -16, v16
	s_barrier_signal -1
	s_barrier_wait -1
	ds_store_b128 v1, v[6:9]
	s_wait_dscnt 0x0
	s_barrier_signal -1
	s_barrier_wait -1
	s_and_saveexec_b32 s6, s5
	s_cbranch_execz .LBB66_15
; %bb.12:
	ds_load_b32 v12, v20
	s_mov_b32 s7, exec_lo
	s_wait_dscnt 0x0
	v_cmpx_eq_u32_e64 v17, v12
	s_cbranch_execz .LBB66_14
; %bb.13:
	v_subrev_nc_u32_e32 v12, 64, v1
	ds_load_b128 v[12:15], v12
	s_wait_dscnt 0x0
	v_add_f64_e32 v[6:7], v[6:7], v[12:13]
	v_add_f64_e32 v[8:9], v[8:9], v[14:15]
.LBB66_14:
	s_or_b32 exec_lo, exec_lo, s7
.LBB66_15:
	s_delay_alu instid0(SALU_CYCLE_1)
	s_or_b32 exec_lo, exec_lo, s6
	v_cmp_lt_u32_e64 s6, 7, v0
	v_subrev_nc_u32_e32 v21, 32, v16
	s_barrier_signal -1
	s_barrier_wait -1
	ds_store_b128 v1, v[6:9]
	s_wait_dscnt 0x0
	s_barrier_signal -1
	s_barrier_wait -1
	s_and_saveexec_b32 s7, s6
	s_cbranch_execz .LBB66_19
; %bb.16:
	ds_load_b32 v12, v21
	s_mov_b32 s8, exec_lo
	s_wait_dscnt 0x0
	v_cmpx_eq_u32_e64 v17, v12
	s_cbranch_execz .LBB66_18
; %bb.17:
	v_add_nc_u32_e32 v12, 0xffffff80, v1
	ds_load_b128 v[12:15], v12
	s_wait_dscnt 0x0
	v_add_f64_e32 v[6:7], v[6:7], v[12:13]
	v_add_f64_e32 v[8:9], v[8:9], v[14:15]
.LBB66_18:
	s_or_b32 exec_lo, exec_lo, s8
.LBB66_19:
	s_delay_alu instid0(SALU_CYCLE_1)
	s_or_b32 exec_lo, exec_lo, s7
	v_cmp_lt_u32_e64 s7, 15, v0
	v_subrev_nc_u32_e32 v22, 64, v16
	s_barrier_signal -1
	s_barrier_wait -1
	ds_store_b128 v1, v[6:9]
	s_wait_dscnt 0x0
	s_barrier_signal -1
	s_barrier_wait -1
	s_and_saveexec_b32 s8, s7
	s_cbranch_execz .LBB66_23
; %bb.20:
	ds_load_b32 v12, v22
	s_mov_b32 s9, exec_lo
	s_wait_dscnt 0x0
	v_cmpx_eq_u32_e64 v17, v12
	s_cbranch_execz .LBB66_22
; %bb.21:
	v_add_nc_u32_e32 v12, 0xffffff00, v1
	ds_load_b128 v[12:15], v12
	s_wait_dscnt 0x0
	v_add_f64_e32 v[6:7], v[6:7], v[12:13]
	v_add_f64_e32 v[8:9], v[8:9], v[14:15]
.LBB66_22:
	s_or_b32 exec_lo, exec_lo, s9
.LBB66_23:
	s_delay_alu instid0(SALU_CYCLE_1)
	s_or_b32 exec_lo, exec_lo, s8
	v_cmp_lt_u32_e64 s8, 31, v0
	v_add_nc_u32_e32 v23, 0xffffff80, v16
	s_barrier_signal -1
	s_barrier_wait -1
	ds_store_b128 v1, v[6:9]
	s_wait_dscnt 0x0
	s_barrier_signal -1
	s_barrier_wait -1
	s_and_saveexec_b32 s9, s8
	s_cbranch_execz .LBB66_27
; %bb.24:
	ds_load_b32 v12, v23
	s_mov_b32 s10, exec_lo
	s_wait_dscnt 0x0
	v_cmpx_eq_u32_e64 v17, v12
	s_cbranch_execz .LBB66_26
; %bb.25:
	v_add_nc_u32_e32 v12, 0xfffffe00, v1
	ds_load_b128 v[12:15], v12
	s_wait_dscnt 0x0
	v_add_f64_e32 v[6:7], v[6:7], v[12:13]
	v_add_f64_e32 v[8:9], v[8:9], v[14:15]
.LBB66_26:
	s_or_b32 exec_lo, exec_lo, s10
.LBB66_27:
	s_delay_alu instid0(SALU_CYCLE_1)
	s_or_b32 exec_lo, exec_lo, s9
	v_cmp_lt_u32_e64 s9, 63, v0
	v_add_nc_u32_e32 v24, 0xffffff00, v16
	s_barrier_signal -1
	s_barrier_wait -1
	ds_store_b128 v1, v[6:9]
	s_wait_dscnt 0x0
	s_barrier_signal -1
	s_barrier_wait -1
	s_and_saveexec_b32 s10, s9
	s_cbranch_execz .LBB66_31
; %bb.28:
	ds_load_b32 v12, v24
	s_mov_b32 s11, exec_lo
	s_wait_dscnt 0x0
	v_cmpx_eq_u32_e64 v17, v12
	s_cbranch_execz .LBB66_30
; %bb.29:
	v_add_nc_u32_e32 v12, 0xfffffc00, v1
	ds_load_b128 v[12:15], v12
	s_wait_dscnt 0x0
	v_add_f64_e32 v[6:7], v[6:7], v[12:13]
	v_add_f64_e32 v[8:9], v[8:9], v[14:15]
.LBB66_30:
	s_or_b32 exec_lo, exec_lo, s11
.LBB66_31:
	s_delay_alu instid0(SALU_CYCLE_1)
	s_or_b32 exec_lo, exec_lo, s10
	s_load_b64 s[26:27], s[0:1], 0x38
	v_cmp_lt_u32_e64 s10, 0x7f, v0
	v_add_nc_u32_e32 v25, 0xfffffe00, v16
	s_barrier_signal -1
	s_barrier_wait -1
	ds_store_b128 v1, v[6:9]
	s_wait_dscnt 0x0
	s_barrier_signal -1
	s_barrier_wait -1
	s_and_saveexec_b32 s11, s10
	s_cbranch_execz .LBB66_35
; %bb.32:
	ds_load_b32 v12, v25
	s_mov_b32 s12, exec_lo
	s_wait_dscnt 0x0
	v_cmpx_eq_u32_e64 v17, v12
	s_cbranch_execz .LBB66_34
; %bb.33:
	v_add_nc_u32_e32 v12, 0xfffff800, v1
	ds_load_b128 v[12:15], v12
	s_wait_dscnt 0x0
	v_add_f64_e32 v[6:7], v[6:7], v[12:13]
	v_add_f64_e32 v[8:9], v[8:9], v[14:15]
.LBB66_34:
	s_or_b32 exec_lo, exec_lo, s12
.LBB66_35:
	s_delay_alu instid0(SALU_CYCLE_1)
	s_or_b32 exec_lo, exec_lo, s11
	v_cmp_gt_u32_e64 s11, 0xff, v0
	s_barrier_signal -1
	s_barrier_wait -1
	ds_store_b128 v1, v[6:9]
	s_wait_dscnt 0x0
	s_barrier_signal -1
	s_barrier_wait -1
	s_and_saveexec_b32 s13, s11
	s_cbranch_execz .LBB66_38
; %bb.36:
	ds_load_b32 v12, v16 offset:4
	v_cmp_lt_i32_e64 s12, -1, v17
	s_wait_dscnt 0x0
	v_cmp_ne_u32_e32 vcc_lo, v17, v12
	s_and_b32 s12, s12, vcc_lo
	s_delay_alu instid0(SALU_CYCLE_1)
	s_and_b32 exec_lo, exec_lo, s12
	s_cbranch_execz .LBB66_38
; %bb.37:
	s_wait_kmcnt 0x0
	global_load_b128 v[12:15], v17, s[26:27] scale_offset
	s_wait_loadcnt 0x0
	v_fmac_f64_e32 v[12:13], v[2:3], v[6:7]
	v_fmac_f64_e32 v[14:15], v[4:5], v[6:7]
	s_delay_alu instid0(VALU_DEP_2) | instskip(NEXT) | instid1(VALU_DEP_2)
	v_fma_f64 v[12:13], -v[4:5], v[8:9], v[12:13]
	v_fmac_f64_e32 v[14:15], v[2:3], v[8:9]
	global_store_b128 v17, v[12:15], s[26:27] scale_offset
.LBB66_38:
	s_wait_xcnt 0x0
	s_or_b32 exec_lo, exec_lo, s13
	s_load_b128 s[12:15], s[0:1], 0x40
	s_cmp_lt_i32 s22, 2
	s_cbranch_scc1 .LBB66_85
; %bb.39:
	v_lshl_add_u64 v[6:7], v[10:11], 3, 0x800
	v_add_nc_u64_e32 v[10:11], 0x100, v[10:11]
	s_ashr_i32 s25, s24, 31
	v_dual_add_nc_u32 v26, -16, v1 :: v_dual_mov_b32 v34, 0
	s_delay_alu instid0(VALU_DEP_3)
	v_add_nc_u64_e32 v[12:13], s[18:19], v[6:7]
	v_add_nc_u64_e32 v[14:15], s[16:17], v[6:7]
	v_subrev_nc_u32_e32 v27, 32, v1
	v_subrev_nc_u32_e32 v28, 64, v1
	v_add_nc_u32_e32 v29, 0xffffff80, v1
	v_add_nc_u32_e32 v30, 0xffffff00, v1
	;; [unrolled: 1-line block ×5, first 2 shown]
	s_wait_xcnt 0x0
	s_lshl_b64 s[0:1], s[24:25], 4
	s_delay_alu instid0(SALU_CYCLE_1)
	s_sub_nc_u64 s[16:17], s[28:29], s[0:1]
	s_add_co_i32 s1, s22, -1
	s_branch .LBB66_41
.LBB66_40:                              ;   in Loop: Header=BB66_41 Depth=1
	s_wait_xcnt 0x0
	s_or_b32 exec_lo, exec_lo, s18
	v_add_nc_u64_e32 v[12:13], 0x800, v[12:13]
	v_add_nc_u64_e32 v[14:15], 0x800, v[14:15]
	v_add_nc_u64_e32 v[10:11], 0x100, v[10:11]
	s_add_co_i32 s1, s1, -1
	s_delay_alu instid0(SALU_CYCLE_1)
	s_cmp_eq_u32 s1, 0
	s_cbranch_scc1 .LBB66_85
.LBB66_41:                              ; =>This Inner Loop Header: Depth=1
	v_mov_b64_e32 v[6:7], 0
	v_mov_b64_e32 v[8:9], 0
	v_mov_b32_e32 v17, -1
	s_mov_b32 s0, exec_lo
	v_cmpx_gt_i64_e64 s[20:21], v[10:11]
	s_cbranch_execz .LBB66_43
; %bb.42:                               ;   in Loop: Header=BB66_41 Depth=1
	global_load_b64 v[40:41], v[14:15], off th:TH_LOAD_NT
	s_wait_loadcnt 0x0
	global_load_b128 v[36:39], v41, s[16:17] scale_offset
	global_load_b64 v[42:43], v[12:13], off th:TH_LOAD_NT
	v_subrev_nc_u32_e32 v17, s24, v40
	s_wait_loadcnt 0x1
	v_mul_f64_e32 v[6:7], 0x80000000, v[38:39]
	s_wait_loadcnt 0x0
	v_mul_f64_e32 v[8:9], v[42:43], v[38:39]
	s_delay_alu instid0(VALU_DEP_2) | instskip(NEXT) | instid1(VALU_DEP_2)
	v_fmac_f64_e32 v[6:7], v[42:43], v[36:37]
	v_fmac_f64_e32 v[8:9], 0, v[36:37]
.LBB66_43:                              ;   in Loop: Header=BB66_41 Depth=1
	s_wait_xcnt 0x0
	s_or_b32 exec_lo, exec_lo, s0
	s_and_saveexec_b32 s0, s2
	s_cbranch_execz .LBB66_50
; %bb.44:                               ;   in Loop: Header=BB66_41 Depth=1
	ds_load_b32 v35, v34 offset:5116
	s_mov_b32 s18, exec_lo
	s_wait_dscnt 0x0
	v_cmpx_ne_u32_e64 v17, v35
	s_xor_b32 s18, exec_lo, s18
	s_cbranch_execz .LBB66_47
; %bb.45:                               ;   in Loop: Header=BB66_41 Depth=1
	v_cmp_gt_i32_e32 vcc_lo, 0, v35
	s_cbranch_vccnz .LBB66_47
; %bb.46:                               ;   in Loop: Header=BB66_41 Depth=1
	s_wait_kmcnt 0x0
	global_load_b128 v[36:39], v35, s[26:27] scale_offset
	ds_load_b128 v[40:43], v34 offset:4080
	s_wait_loadcnt_dscnt 0x0
	v_fmac_f64_e32 v[36:37], v[2:3], v[40:41]
	v_fmac_f64_e32 v[38:39], v[4:5], v[40:41]
	s_delay_alu instid0(VALU_DEP_2) | instskip(NEXT) | instid1(VALU_DEP_2)
	v_fma_f64 v[36:37], -v[4:5], v[42:43], v[36:37]
	v_fmac_f64_e32 v[38:39], v[2:3], v[42:43]
	global_store_b128 v35, v[36:39], s[26:27] scale_offset
.LBB66_47:                              ;   in Loop: Header=BB66_41 Depth=1
	s_wait_xcnt 0x0
	s_and_not1_saveexec_b32 s18, s18
	s_cbranch_execz .LBB66_49
; %bb.48:                               ;   in Loop: Header=BB66_41 Depth=1
	ds_load_b128 v[36:39], v34 offset:4080
	s_wait_dscnt 0x0
	v_add_f64_e32 v[6:7], v[6:7], v[36:37]
	v_add_f64_e32 v[8:9], v[8:9], v[38:39]
.LBB66_49:                              ;   in Loop: Header=BB66_41 Depth=1
	s_or_b32 exec_lo, exec_lo, s18
.LBB66_50:                              ;   in Loop: Header=BB66_41 Depth=1
	s_delay_alu instid0(SALU_CYCLE_1)
	s_or_b32 exec_lo, exec_lo, s0
	s_wait_storecnt 0x0
	s_barrier_signal -1
	s_barrier_wait -1
	ds_store_b32 v16, v17
	ds_store_b128 v1, v[6:9]
	s_wait_dscnt 0x0
	s_barrier_signal -1
	s_barrier_wait -1
	s_and_saveexec_b32 s0, s3
	s_cbranch_execz .LBB66_54
; %bb.51:                               ;   in Loop: Header=BB66_41 Depth=1
	ds_load_b32 v35, v18
	s_mov_b32 s18, exec_lo
	s_wait_dscnt 0x0
	v_cmpx_eq_u32_e64 v17, v35
	s_cbranch_execz .LBB66_53
; %bb.52:                               ;   in Loop: Header=BB66_41 Depth=1
	ds_load_b128 v[36:39], v26
	s_wait_dscnt 0x0
	v_add_f64_e32 v[6:7], v[6:7], v[36:37]
	v_add_f64_e32 v[8:9], v[8:9], v[38:39]
.LBB66_53:                              ;   in Loop: Header=BB66_41 Depth=1
	s_or_b32 exec_lo, exec_lo, s18
.LBB66_54:                              ;   in Loop: Header=BB66_41 Depth=1
	s_delay_alu instid0(SALU_CYCLE_1)
	s_or_b32 exec_lo, exec_lo, s0
	s_barrier_signal -1
	s_barrier_wait -1
	ds_store_b128 v1, v[6:9]
	s_wait_dscnt 0x0
	s_barrier_signal -1
	s_barrier_wait -1
	s_and_saveexec_b32 s0, s4
	s_cbranch_execz .LBB66_58
; %bb.55:                               ;   in Loop: Header=BB66_41 Depth=1
	ds_load_b32 v35, v19
	s_mov_b32 s18, exec_lo
	s_wait_dscnt 0x0
	v_cmpx_eq_u32_e64 v17, v35
	s_cbranch_execz .LBB66_57
; %bb.56:                               ;   in Loop: Header=BB66_41 Depth=1
	ds_load_b128 v[36:39], v27
	s_wait_dscnt 0x0
	v_add_f64_e32 v[6:7], v[6:7], v[36:37]
	v_add_f64_e32 v[8:9], v[8:9], v[38:39]
.LBB66_57:                              ;   in Loop: Header=BB66_41 Depth=1
	s_or_b32 exec_lo, exec_lo, s18
.LBB66_58:                              ;   in Loop: Header=BB66_41 Depth=1
	s_delay_alu instid0(SALU_CYCLE_1)
	s_or_b32 exec_lo, exec_lo, s0
	s_barrier_signal -1
	s_barrier_wait -1
	;; [unrolled: 24-line block ×8, first 2 shown]
	ds_store_b128 v1, v[6:9]
	s_wait_dscnt 0x0
	s_barrier_signal -1
	s_barrier_wait -1
	s_and_saveexec_b32 s18, s11
	s_cbranch_execz .LBB66_40
; %bb.83:                               ;   in Loop: Header=BB66_41 Depth=1
	ds_load_b32 v35, v16 offset:4
	v_cmp_lt_i32_e64 s0, -1, v17
	s_wait_dscnt 0x0
	v_cmp_ne_u32_e32 vcc_lo, v17, v35
	s_and_b32 s0, s0, vcc_lo
	s_delay_alu instid0(SALU_CYCLE_1)
	s_and_b32 exec_lo, exec_lo, s0
	s_cbranch_execz .LBB66_40
; %bb.84:                               ;   in Loop: Header=BB66_41 Depth=1
	s_wait_kmcnt 0x0
	global_load_b128 v[36:39], v17, s[26:27] scale_offset
	s_wait_loadcnt 0x0
	v_fmac_f64_e32 v[36:37], v[2:3], v[6:7]
	v_fmac_f64_e32 v[38:39], v[4:5], v[6:7]
	s_delay_alu instid0(VALU_DEP_2) | instskip(NEXT) | instid1(VALU_DEP_2)
	v_fma_f64 v[36:37], -v[4:5], v[8:9], v[36:37]
	v_fmac_f64_e32 v[38:39], v[2:3], v[8:9]
	global_store_b128 v17, v[36:39], s[26:27] scale_offset
	s_branch .LBB66_40
.LBB66_85:
	v_cmp_eq_u32_e32 vcc_lo, 0xff, v0
	s_and_b32 exec_lo, exec_lo, vcc_lo
	s_cbranch_execz .LBB66_87
; %bb.86:
	v_dual_mul_f64 v[10:11], v[8:9], -v[4:5] :: v_dual_mov_b32 v0, s23
	v_mul_f64_e32 v[12:13], v[2:3], v[8:9]
	s_delay_alu instid0(VALU_DEP_2) | instskip(NEXT) | instid1(VALU_DEP_2)
	v_fmac_f64_e32 v[10:11], v[2:3], v[6:7]
	v_fmac_f64_e32 v[12:13], v[4:5], v[6:7]
	s_wait_kmcnt 0x0
	s_clause 0x1
	global_store_b32 v0, v17, s[12:13] scale_offset th:TH_STORE_NT
	global_store_b128 v0, v[10:13], s[14:15] scale_offset th:TH_STORE_NT
.LBB66_87:
	s_endpgm
	.section	.rodata,"a",@progbits
	.p2align	6, 0x0
	.amdhsa_kernel _ZN9rocsparseL26coomvn_aos_segmented_loopsILj256Eid21rocsparse_complex_numIdES2_S2_EEvlT0_NS_24const_host_device_scalarIT4_EEPKS3_PKT1_PKT2_PT3_PS3_PS5_21rocsparse_index_base_b
		.amdhsa_group_segment_fixed_size 5120
		.amdhsa_private_segment_fixed_size 0
		.amdhsa_kernarg_size 88
		.amdhsa_user_sgpr_count 2
		.amdhsa_user_sgpr_dispatch_ptr 0
		.amdhsa_user_sgpr_queue_ptr 0
		.amdhsa_user_sgpr_kernarg_segment_ptr 1
		.amdhsa_user_sgpr_dispatch_id 0
		.amdhsa_user_sgpr_kernarg_preload_length 0
		.amdhsa_user_sgpr_kernarg_preload_offset 0
		.amdhsa_user_sgpr_private_segment_size 0
		.amdhsa_wavefront_size32 1
		.amdhsa_uses_dynamic_stack 0
		.amdhsa_enable_private_segment 0
		.amdhsa_system_sgpr_workgroup_id_x 1
		.amdhsa_system_sgpr_workgroup_id_y 0
		.amdhsa_system_sgpr_workgroup_id_z 0
		.amdhsa_system_sgpr_workgroup_info 0
		.amdhsa_system_vgpr_workitem_id 0
		.amdhsa_next_free_vgpr 44
		.amdhsa_next_free_sgpr 30
		.amdhsa_named_barrier_count 0
		.amdhsa_reserve_vcc 1
		.amdhsa_float_round_mode_32 0
		.amdhsa_float_round_mode_16_64 0
		.amdhsa_float_denorm_mode_32 3
		.amdhsa_float_denorm_mode_16_64 3
		.amdhsa_fp16_overflow 0
		.amdhsa_memory_ordered 1
		.amdhsa_forward_progress 1
		.amdhsa_inst_pref_size 23
		.amdhsa_round_robin_scheduling 0
		.amdhsa_exception_fp_ieee_invalid_op 0
		.amdhsa_exception_fp_denorm_src 0
		.amdhsa_exception_fp_ieee_div_zero 0
		.amdhsa_exception_fp_ieee_overflow 0
		.amdhsa_exception_fp_ieee_underflow 0
		.amdhsa_exception_fp_ieee_inexact 0
		.amdhsa_exception_int_div_zero 0
	.end_amdhsa_kernel
	.section	.text._ZN9rocsparseL26coomvn_aos_segmented_loopsILj256Eid21rocsparse_complex_numIdES2_S2_EEvlT0_NS_24const_host_device_scalarIT4_EEPKS3_PKT1_PKT2_PT3_PS3_PS5_21rocsparse_index_base_b,"axG",@progbits,_ZN9rocsparseL26coomvn_aos_segmented_loopsILj256Eid21rocsparse_complex_numIdES2_S2_EEvlT0_NS_24const_host_device_scalarIT4_EEPKS3_PKT1_PKT2_PT3_PS3_PS5_21rocsparse_index_base_b,comdat
.Lfunc_end66:
	.size	_ZN9rocsparseL26coomvn_aos_segmented_loopsILj256Eid21rocsparse_complex_numIdES2_S2_EEvlT0_NS_24const_host_device_scalarIT4_EEPKS3_PKT1_PKT2_PT3_PS3_PS5_21rocsparse_index_base_b, .Lfunc_end66-_ZN9rocsparseL26coomvn_aos_segmented_loopsILj256Eid21rocsparse_complex_numIdES2_S2_EEvlT0_NS_24const_host_device_scalarIT4_EEPKS3_PKT1_PKT2_PT3_PS3_PS5_21rocsparse_index_base_b
                                        ; -- End function
	.set _ZN9rocsparseL26coomvn_aos_segmented_loopsILj256Eid21rocsparse_complex_numIdES2_S2_EEvlT0_NS_24const_host_device_scalarIT4_EEPKS3_PKT1_PKT2_PT3_PS3_PS5_21rocsparse_index_base_b.num_vgpr, 44
	.set _ZN9rocsparseL26coomvn_aos_segmented_loopsILj256Eid21rocsparse_complex_numIdES2_S2_EEvlT0_NS_24const_host_device_scalarIT4_EEPKS3_PKT1_PKT2_PT3_PS3_PS5_21rocsparse_index_base_b.num_agpr, 0
	.set _ZN9rocsparseL26coomvn_aos_segmented_loopsILj256Eid21rocsparse_complex_numIdES2_S2_EEvlT0_NS_24const_host_device_scalarIT4_EEPKS3_PKT1_PKT2_PT3_PS3_PS5_21rocsparse_index_base_b.numbered_sgpr, 30
	.set _ZN9rocsparseL26coomvn_aos_segmented_loopsILj256Eid21rocsparse_complex_numIdES2_S2_EEvlT0_NS_24const_host_device_scalarIT4_EEPKS3_PKT1_PKT2_PT3_PS3_PS5_21rocsparse_index_base_b.num_named_barrier, 0
	.set _ZN9rocsparseL26coomvn_aos_segmented_loopsILj256Eid21rocsparse_complex_numIdES2_S2_EEvlT0_NS_24const_host_device_scalarIT4_EEPKS3_PKT1_PKT2_PT3_PS3_PS5_21rocsparse_index_base_b.private_seg_size, 0
	.set _ZN9rocsparseL26coomvn_aos_segmented_loopsILj256Eid21rocsparse_complex_numIdES2_S2_EEvlT0_NS_24const_host_device_scalarIT4_EEPKS3_PKT1_PKT2_PT3_PS3_PS5_21rocsparse_index_base_b.uses_vcc, 1
	.set _ZN9rocsparseL26coomvn_aos_segmented_loopsILj256Eid21rocsparse_complex_numIdES2_S2_EEvlT0_NS_24const_host_device_scalarIT4_EEPKS3_PKT1_PKT2_PT3_PS3_PS5_21rocsparse_index_base_b.uses_flat_scratch, 0
	.set _ZN9rocsparseL26coomvn_aos_segmented_loopsILj256Eid21rocsparse_complex_numIdES2_S2_EEvlT0_NS_24const_host_device_scalarIT4_EEPKS3_PKT1_PKT2_PT3_PS3_PS5_21rocsparse_index_base_b.has_dyn_sized_stack, 0
	.set _ZN9rocsparseL26coomvn_aos_segmented_loopsILj256Eid21rocsparse_complex_numIdES2_S2_EEvlT0_NS_24const_host_device_scalarIT4_EEPKS3_PKT1_PKT2_PT3_PS3_PS5_21rocsparse_index_base_b.has_recursion, 0
	.set _ZN9rocsparseL26coomvn_aos_segmented_loopsILj256Eid21rocsparse_complex_numIdES2_S2_EEvlT0_NS_24const_host_device_scalarIT4_EEPKS3_PKT1_PKT2_PT3_PS3_PS5_21rocsparse_index_base_b.has_indirect_call, 0
	.section	.AMDGPU.csdata,"",@progbits
; Kernel info:
; codeLenInByte = 2908
; TotalNumSgprs: 32
; NumVgprs: 44
; ScratchSize: 0
; MemoryBound: 1
; FloatMode: 240
; IeeeMode: 1
; LDSByteSize: 5120 bytes/workgroup (compile time only)
; SGPRBlocks: 0
; VGPRBlocks: 2
; NumSGPRsForWavesPerEU: 32
; NumVGPRsForWavesPerEU: 44
; NamedBarCnt: 0
; Occupancy: 16
; WaveLimiterHint : 1
; COMPUTE_PGM_RSRC2:SCRATCH_EN: 0
; COMPUTE_PGM_RSRC2:USER_SGPR: 2
; COMPUTE_PGM_RSRC2:TRAP_HANDLER: 0
; COMPUTE_PGM_RSRC2:TGID_X_EN: 1
; COMPUTE_PGM_RSRC2:TGID_Y_EN: 0
; COMPUTE_PGM_RSRC2:TGID_Z_EN: 0
; COMPUTE_PGM_RSRC2:TIDIG_COMP_CNT: 0
	.section	.text._ZN9rocsparseL23coomvn_aos_atomic_loopsILj256ELj1Eld21rocsparse_complex_numIdES2_S2_EEvlNS_24const_host_device_scalarIT5_EEPKT1_PKT2_PKT3_PT4_21rocsparse_index_base_b,"axG",@progbits,_ZN9rocsparseL23coomvn_aos_atomic_loopsILj256ELj1Eld21rocsparse_complex_numIdES2_S2_EEvlNS_24const_host_device_scalarIT5_EEPKT1_PKT2_PKT3_PT4_21rocsparse_index_base_b,comdat
	.globl	_ZN9rocsparseL23coomvn_aos_atomic_loopsILj256ELj1Eld21rocsparse_complex_numIdES2_S2_EEvlNS_24const_host_device_scalarIT5_EEPKT1_PKT2_PKT3_PT4_21rocsparse_index_base_b ; -- Begin function _ZN9rocsparseL23coomvn_aos_atomic_loopsILj256ELj1Eld21rocsparse_complex_numIdES2_S2_EEvlNS_24const_host_device_scalarIT5_EEPKT1_PKT2_PKT3_PT4_21rocsparse_index_base_b
	.p2align	8
	.type	_ZN9rocsparseL23coomvn_aos_atomic_loopsILj256ELj1Eld21rocsparse_complex_numIdES2_S2_EEvlNS_24const_host_device_scalarIT5_EEPKT1_PKT2_PKT3_PT4_21rocsparse_index_base_b,@function
_ZN9rocsparseL23coomvn_aos_atomic_loopsILj256ELj1Eld21rocsparse_complex_numIdES2_S2_EEvlNS_24const_host_device_scalarIT5_EEPKT1_PKT2_PKT3_PT4_21rocsparse_index_base_b: ; @_ZN9rocsparseL23coomvn_aos_atomic_loopsILj256ELj1Eld21rocsparse_complex_numIdES2_S2_EEvlNS_24const_host_device_scalarIT5_EEPKT1_PKT2_PKT3_PT4_21rocsparse_index_base_b
; %bb.0:
	s_clause 0x1
	s_load_b64 s[8:9], s[0:1], 0x38
	s_load_b128 s[4:7], s[0:1], 0x0
	v_mov_b32_e32 v13, 0
	s_or_b64 s[2:3], s[0:1], 8
	s_wait_kmcnt 0x0
	s_bitcmp1_b32 s9, 0
	s_cselect_b32 s3, s3, s7
	s_cselect_b32 s2, s2, s6
	flat_load_b128 v[2:5], v13, s[2:3]
	s_wait_loadcnt_dscnt 0x0
	v_cmp_neq_f64_e32 vcc_lo, 0, v[2:3]
	v_cmp_neq_f64_e64 s2, 0, v[4:5]
	s_or_b32 s2, vcc_lo, s2
	s_delay_alu instid0(SALU_CYCLE_1)
	s_and_saveexec_b32 s3, s2
	s_cbranch_execz .LBB67_40
; %bb.1:
	s_bfe_u32 s2, ttmp6, 0x4000c
	v_mov_b64_e32 v[6:7], 0
	s_add_co_i32 s2, s2, 1
	s_and_b32 s3, ttmp6, 15
	s_mul_i32 s2, ttmp9, s2
	s_getreg_b32 s6, hwreg(HW_REG_IB_STS2, 6, 4)
	s_add_co_i32 s3, s3, s2
	s_cmp_eq_u32 s6, 0
	v_mov_b64_e32 v[10:11], -1
	s_cselect_b32 s2, ttmp9, s3
	v_mov_b64_e32 v[8:9], v[6:7]
	v_lshl_or_b32 v12, s2, 8, v0
	s_mov_b32 s9, 0
	s_mov_b32 s2, exec_lo
	s_delay_alu instid0(VALU_DEP_1)
	v_cmpx_gt_i64_e64 s[4:5], v[12:13]
	s_cbranch_execz .LBB67_3
; %bb.2:
	s_clause 0x1
	s_load_b128 s[4:7], s[0:1], 0x18
	s_load_b64 s[10:11], s[0:1], 0x28
	s_wait_kmcnt 0x0
	v_lshl_add_u64 v[6:7], v[12:13], 4, s[4:5]
	v_lshl_add_u64 v[8:9], v[12:13], 3, s[6:7]
	global_load_b128 v[14:17], v[6:7], off th:TH_LOAD_NT
	s_wait_loadcnt 0x0
	v_sub_nc_u64_e64 v[6:7], v[16:17], s[8:9]
	s_delay_alu instid0(VALU_DEP_1)
	v_lshl_add_u64 v[6:7], v[6:7], 4, s[10:11]
	global_load_b128 v[10:13], v[6:7], off
	global_load_b64 v[16:17], v[8:9], off th:TH_LOAD_NT
	s_wait_loadcnt 0x1
	s_wait_xcnt 0x1
	v_mul_f64_e32 v[6:7], 0x80000000, v[12:13]
	s_wait_loadcnt 0x0
	v_mul_f64_e32 v[8:9], v[16:17], v[12:13]
	s_delay_alu instid0(VALU_DEP_2) | instskip(NEXT) | instid1(VALU_DEP_2)
	v_fmac_f64_e32 v[6:7], v[16:17], v[10:11]
	v_fmac_f64_e32 v[8:9], 0, v[10:11]
	v_sub_nc_u64_e64 v[10:11], v[14:15], s[8:9]
.LBB67_3:
	s_or_b32 exec_lo, exec_lo, s2
	v_dual_lshlrev_b32 v13, 3, v0 :: v_dual_lshlrev_b32 v12, 4, v0
	s_mov_b32 s2, exec_lo
	ds_store_b64 v13, v[10:11] offset:4096
	ds_store_b128 v12, v[6:9]
	v_or_b32_e32 v1, 0x1000, v13
	s_wait_dscnt 0x0
	s_barrier_signal -1
	s_barrier_wait -1
	v_cmpx_ne_u32_e32 0, v0
	s_cbranch_execz .LBB67_7
; %bb.4:
	v_add_nc_u32_e32 v13, -8, v1
	s_mov_b32 s3, exec_lo
	ds_load_b64 v[14:15], v13
	s_wait_dscnt 0x0
	v_cmpx_eq_u64_e64 v[10:11], v[14:15]
	s_cbranch_execz .LBB67_6
; %bb.5:
	v_add_nc_u32_e32 v13, -16, v12
	ds_load_b128 v[14:17], v13
	s_wait_dscnt 0x0
	v_add_f64_e32 v[6:7], v[6:7], v[14:15]
	v_add_f64_e32 v[8:9], v[8:9], v[16:17]
.LBB67_6:
	s_or_b32 exec_lo, exec_lo, s3
.LBB67_7:
	s_delay_alu instid0(SALU_CYCLE_1) | instskip(NEXT) | instid1(SALU_CYCLE_1)
	s_or_b32 exec_lo, exec_lo, s2
	s_mov_b32 s2, exec_lo
	s_barrier_signal -1
	s_barrier_wait -1
	ds_store_b128 v12, v[6:9]
	s_wait_dscnt 0x0
	s_barrier_signal -1
	s_barrier_wait -1
	v_cmpx_lt_u32_e32 1, v0
	s_cbranch_execz .LBB67_11
; %bb.8:
	v_add_nc_u32_e32 v13, -16, v1
	s_mov_b32 s3, exec_lo
	ds_load_b64 v[14:15], v13
	s_wait_dscnt 0x0
	v_cmpx_eq_u64_e64 v[10:11], v[14:15]
	s_cbranch_execz .LBB67_10
; %bb.9:
	v_subrev_nc_u32_e32 v13, 32, v12
	ds_load_b128 v[14:17], v13
	s_wait_dscnt 0x0
	v_add_f64_e32 v[6:7], v[6:7], v[14:15]
	v_add_f64_e32 v[8:9], v[8:9], v[16:17]
.LBB67_10:
	s_or_b32 exec_lo, exec_lo, s3
.LBB67_11:
	s_delay_alu instid0(SALU_CYCLE_1) | instskip(NEXT) | instid1(SALU_CYCLE_1)
	s_or_b32 exec_lo, exec_lo, s2
	s_mov_b32 s2, exec_lo
	s_barrier_signal -1
	s_barrier_wait -1
	ds_store_b128 v12, v[6:9]
	s_wait_dscnt 0x0
	s_barrier_signal -1
	s_barrier_wait -1
	v_cmpx_lt_u32_e32 3, v0
	s_cbranch_execz .LBB67_15
; %bb.12:
	v_subrev_nc_u32_e32 v13, 32, v1
	s_mov_b32 s3, exec_lo
	ds_load_b64 v[14:15], v13
	s_wait_dscnt 0x0
	v_cmpx_eq_u64_e64 v[10:11], v[14:15]
	s_cbranch_execz .LBB67_14
; %bb.13:
	v_subrev_nc_u32_e32 v13, 64, v12
	ds_load_b128 v[14:17], v13
	s_wait_dscnt 0x0
	v_add_f64_e32 v[6:7], v[6:7], v[14:15]
	v_add_f64_e32 v[8:9], v[8:9], v[16:17]
.LBB67_14:
	s_or_b32 exec_lo, exec_lo, s3
.LBB67_15:
	s_delay_alu instid0(SALU_CYCLE_1) | instskip(NEXT) | instid1(SALU_CYCLE_1)
	s_or_b32 exec_lo, exec_lo, s2
	s_mov_b32 s2, exec_lo
	s_barrier_signal -1
	s_barrier_wait -1
	ds_store_b128 v12, v[6:9]
	s_wait_dscnt 0x0
	s_barrier_signal -1
	s_barrier_wait -1
	v_cmpx_lt_u32_e32 7, v0
	s_cbranch_execz .LBB67_19
; %bb.16:
	v_subrev_nc_u32_e32 v13, 64, v1
	s_mov_b32 s3, exec_lo
	ds_load_b64 v[14:15], v13
	s_wait_dscnt 0x0
	v_cmpx_eq_u64_e64 v[10:11], v[14:15]
	s_cbranch_execz .LBB67_18
; %bb.17:
	v_add_nc_u32_e32 v13, 0xffffff80, v12
	ds_load_b128 v[14:17], v13
	s_wait_dscnt 0x0
	v_add_f64_e32 v[6:7], v[6:7], v[14:15]
	v_add_f64_e32 v[8:9], v[8:9], v[16:17]
.LBB67_18:
	s_or_b32 exec_lo, exec_lo, s3
.LBB67_19:
	s_delay_alu instid0(SALU_CYCLE_1) | instskip(NEXT) | instid1(SALU_CYCLE_1)
	s_or_b32 exec_lo, exec_lo, s2
	s_mov_b32 s2, exec_lo
	s_barrier_signal -1
	s_barrier_wait -1
	ds_store_b128 v12, v[6:9]
	s_wait_dscnt 0x0
	s_barrier_signal -1
	s_barrier_wait -1
	v_cmpx_lt_u32_e32 15, v0
	s_cbranch_execz .LBB67_23
; %bb.20:
	v_add_nc_u32_e32 v13, 0xffffff80, v1
	s_mov_b32 s3, exec_lo
	ds_load_b64 v[14:15], v13
	s_wait_dscnt 0x0
	v_cmpx_eq_u64_e64 v[10:11], v[14:15]
	s_cbranch_execz .LBB67_22
; %bb.21:
	v_add_nc_u32_e32 v13, 0xffffff00, v12
	ds_load_b128 v[14:17], v13
	s_wait_dscnt 0x0
	v_add_f64_e32 v[6:7], v[6:7], v[14:15]
	v_add_f64_e32 v[8:9], v[8:9], v[16:17]
.LBB67_22:
	s_or_b32 exec_lo, exec_lo, s3
.LBB67_23:
	s_delay_alu instid0(SALU_CYCLE_1) | instskip(NEXT) | instid1(SALU_CYCLE_1)
	s_or_b32 exec_lo, exec_lo, s2
	s_mov_b32 s2, exec_lo
	s_barrier_signal -1
	s_barrier_wait -1
	ds_store_b128 v12, v[6:9]
	s_wait_dscnt 0x0
	s_barrier_signal -1
	s_barrier_wait -1
	v_cmpx_lt_u32_e32 31, v0
	s_cbranch_execz .LBB67_27
; %bb.24:
	v_add_nc_u32_e32 v13, 0xffffff00, v1
	s_mov_b32 s3, exec_lo
	ds_load_b64 v[14:15], v13
	s_wait_dscnt 0x0
	v_cmpx_eq_u64_e64 v[10:11], v[14:15]
	s_cbranch_execz .LBB67_26
; %bb.25:
	v_add_nc_u32_e32 v13, 0xfffffe00, v12
	ds_load_b128 v[14:17], v13
	s_wait_dscnt 0x0
	v_add_f64_e32 v[6:7], v[6:7], v[14:15]
	v_add_f64_e32 v[8:9], v[8:9], v[16:17]
.LBB67_26:
	s_or_b32 exec_lo, exec_lo, s3
.LBB67_27:
	;; [unrolled: 27-line block ×4, first 2 shown]
	s_delay_alu instid0(SALU_CYCLE_1)
	s_or_b32 exec_lo, exec_lo, s2
	s_load_b64 s[2:3], s[0:1], 0x30
	s_wait_xcnt 0x0
	s_mov_b32 s1, exec_lo
	s_barrier_signal -1
	s_barrier_wait -1
	ds_store_b128 v12, v[6:9]
	s_wait_dscnt 0x0
	s_barrier_signal -1
	s_barrier_wait -1
	v_cmpx_gt_u32_e32 0xff, v0
	s_cbranch_execz .LBB67_38
; %bb.36:
	ds_load_b64 v[12:13], v1 offset:8
	v_cmp_lt_i64_e64 s0, -1, v[10:11]
	s_wait_dscnt 0x0
	v_cmp_ne_u64_e32 vcc_lo, v[10:11], v[12:13]
	s_and_b32 s0, s0, vcc_lo
	s_delay_alu instid0(SALU_CYCLE_1)
	s_and_b32 exec_lo, exec_lo, s0
	s_cbranch_execz .LBB67_38
; %bb.37:
	v_mul_f64_e64 v[12:13], v[8:9], -v[4:5]
	v_mul_f64_e32 v[14:15], v[2:3], v[8:9]
	s_wait_kmcnt 0x0
	v_lshl_add_u64 v[16:17], v[10:11], 4, s[2:3]
	s_delay_alu instid0(VALU_DEP_3) | instskip(NEXT) | instid1(VALU_DEP_3)
	v_fmac_f64_e32 v[12:13], v[2:3], v[6:7]
	v_fmac_f64_e32 v[14:15], v[4:5], v[6:7]
	global_atomic_add_f64 v[16:17], v[12:13], off scope:SCOPE_DEV
	s_wait_xcnt 0x0
	global_atomic_add_f64 v[16:17], v[14:15], off offset:8 scope:SCOPE_DEV
.LBB67_38:
	s_wait_xcnt 0x0
	s_or_b32 exec_lo, exec_lo, s1
	v_cmp_lt_i64_e32 vcc_lo, -1, v[10:11]
	v_cmp_eq_u32_e64 s0, 0xff, v0
	s_and_b32 s0, s0, vcc_lo
	s_delay_alu instid0(SALU_CYCLE_1)
	s_and_b32 exec_lo, exec_lo, s0
	s_cbranch_execz .LBB67_40
; %bb.39:
	v_mul_f64_e64 v[0:1], v[8:9], -v[4:5]
	v_mul_f64_e32 v[8:9], v[2:3], v[8:9]
	s_delay_alu instid0(VALU_DEP_2) | instskip(NEXT) | instid1(VALU_DEP_2)
	v_fmac_f64_e32 v[0:1], v[2:3], v[6:7]
	v_fmac_f64_e32 v[8:9], v[4:5], v[6:7]
	s_wait_kmcnt 0x0
	v_lshl_add_u64 v[2:3], v[10:11], 4, s[2:3]
	global_atomic_add_f64 v[2:3], v[0:1], off scope:SCOPE_DEV
	s_wait_xcnt 0x0
	global_atomic_add_f64 v[2:3], v[8:9], off offset:8 scope:SCOPE_DEV
.LBB67_40:
	s_endpgm
	.section	.rodata,"a",@progbits
	.p2align	6, 0x0
	.amdhsa_kernel _ZN9rocsparseL23coomvn_aos_atomic_loopsILj256ELj1Eld21rocsparse_complex_numIdES2_S2_EEvlNS_24const_host_device_scalarIT5_EEPKT1_PKT2_PKT3_PT4_21rocsparse_index_base_b
		.amdhsa_group_segment_fixed_size 6144
		.amdhsa_private_segment_fixed_size 0
		.amdhsa_kernarg_size 64
		.amdhsa_user_sgpr_count 2
		.amdhsa_user_sgpr_dispatch_ptr 0
		.amdhsa_user_sgpr_queue_ptr 0
		.amdhsa_user_sgpr_kernarg_segment_ptr 1
		.amdhsa_user_sgpr_dispatch_id 0
		.amdhsa_user_sgpr_kernarg_preload_length 0
		.amdhsa_user_sgpr_kernarg_preload_offset 0
		.amdhsa_user_sgpr_private_segment_size 0
		.amdhsa_wavefront_size32 1
		.amdhsa_uses_dynamic_stack 0
		.amdhsa_enable_private_segment 0
		.amdhsa_system_sgpr_workgroup_id_x 1
		.amdhsa_system_sgpr_workgroup_id_y 0
		.amdhsa_system_sgpr_workgroup_id_z 0
		.amdhsa_system_sgpr_workgroup_info 0
		.amdhsa_system_vgpr_workitem_id 0
		.amdhsa_next_free_vgpr 18
		.amdhsa_next_free_sgpr 12
		.amdhsa_named_barrier_count 0
		.amdhsa_reserve_vcc 1
		.amdhsa_float_round_mode_32 0
		.amdhsa_float_round_mode_16_64 0
		.amdhsa_float_denorm_mode_32 3
		.amdhsa_float_denorm_mode_16_64 3
		.amdhsa_fp16_overflow 0
		.amdhsa_memory_ordered 1
		.amdhsa_forward_progress 1
		.amdhsa_inst_pref_size 12
		.amdhsa_round_robin_scheduling 0
		.amdhsa_exception_fp_ieee_invalid_op 0
		.amdhsa_exception_fp_denorm_src 0
		.amdhsa_exception_fp_ieee_div_zero 0
		.amdhsa_exception_fp_ieee_overflow 0
		.amdhsa_exception_fp_ieee_underflow 0
		.amdhsa_exception_fp_ieee_inexact 0
		.amdhsa_exception_int_div_zero 0
	.end_amdhsa_kernel
	.section	.text._ZN9rocsparseL23coomvn_aos_atomic_loopsILj256ELj1Eld21rocsparse_complex_numIdES2_S2_EEvlNS_24const_host_device_scalarIT5_EEPKT1_PKT2_PKT3_PT4_21rocsparse_index_base_b,"axG",@progbits,_ZN9rocsparseL23coomvn_aos_atomic_loopsILj256ELj1Eld21rocsparse_complex_numIdES2_S2_EEvlNS_24const_host_device_scalarIT5_EEPKT1_PKT2_PKT3_PT4_21rocsparse_index_base_b,comdat
.Lfunc_end67:
	.size	_ZN9rocsparseL23coomvn_aos_atomic_loopsILj256ELj1Eld21rocsparse_complex_numIdES2_S2_EEvlNS_24const_host_device_scalarIT5_EEPKT1_PKT2_PKT3_PT4_21rocsparse_index_base_b, .Lfunc_end67-_ZN9rocsparseL23coomvn_aos_atomic_loopsILj256ELj1Eld21rocsparse_complex_numIdES2_S2_EEvlNS_24const_host_device_scalarIT5_EEPKT1_PKT2_PKT3_PT4_21rocsparse_index_base_b
                                        ; -- End function
	.set _ZN9rocsparseL23coomvn_aos_atomic_loopsILj256ELj1Eld21rocsparse_complex_numIdES2_S2_EEvlNS_24const_host_device_scalarIT5_EEPKT1_PKT2_PKT3_PT4_21rocsparse_index_base_b.num_vgpr, 18
	.set _ZN9rocsparseL23coomvn_aos_atomic_loopsILj256ELj1Eld21rocsparse_complex_numIdES2_S2_EEvlNS_24const_host_device_scalarIT5_EEPKT1_PKT2_PKT3_PT4_21rocsparse_index_base_b.num_agpr, 0
	.set _ZN9rocsparseL23coomvn_aos_atomic_loopsILj256ELj1Eld21rocsparse_complex_numIdES2_S2_EEvlNS_24const_host_device_scalarIT5_EEPKT1_PKT2_PKT3_PT4_21rocsparse_index_base_b.numbered_sgpr, 12
	.set _ZN9rocsparseL23coomvn_aos_atomic_loopsILj256ELj1Eld21rocsparse_complex_numIdES2_S2_EEvlNS_24const_host_device_scalarIT5_EEPKT1_PKT2_PKT3_PT4_21rocsparse_index_base_b.num_named_barrier, 0
	.set _ZN9rocsparseL23coomvn_aos_atomic_loopsILj256ELj1Eld21rocsparse_complex_numIdES2_S2_EEvlNS_24const_host_device_scalarIT5_EEPKT1_PKT2_PKT3_PT4_21rocsparse_index_base_b.private_seg_size, 0
	.set _ZN9rocsparseL23coomvn_aos_atomic_loopsILj256ELj1Eld21rocsparse_complex_numIdES2_S2_EEvlNS_24const_host_device_scalarIT5_EEPKT1_PKT2_PKT3_PT4_21rocsparse_index_base_b.uses_vcc, 1
	.set _ZN9rocsparseL23coomvn_aos_atomic_loopsILj256ELj1Eld21rocsparse_complex_numIdES2_S2_EEvlNS_24const_host_device_scalarIT5_EEPKT1_PKT2_PKT3_PT4_21rocsparse_index_base_b.uses_flat_scratch, 0
	.set _ZN9rocsparseL23coomvn_aos_atomic_loopsILj256ELj1Eld21rocsparse_complex_numIdES2_S2_EEvlNS_24const_host_device_scalarIT5_EEPKT1_PKT2_PKT3_PT4_21rocsparse_index_base_b.has_dyn_sized_stack, 0
	.set _ZN9rocsparseL23coomvn_aos_atomic_loopsILj256ELj1Eld21rocsparse_complex_numIdES2_S2_EEvlNS_24const_host_device_scalarIT5_EEPKT1_PKT2_PKT3_PT4_21rocsparse_index_base_b.has_recursion, 0
	.set _ZN9rocsparseL23coomvn_aos_atomic_loopsILj256ELj1Eld21rocsparse_complex_numIdES2_S2_EEvlNS_24const_host_device_scalarIT5_EEPKT1_PKT2_PKT3_PT4_21rocsparse_index_base_b.has_indirect_call, 0
	.section	.AMDGPU.csdata,"",@progbits
; Kernel info:
; codeLenInByte = 1508
; TotalNumSgprs: 14
; NumVgprs: 18
; ScratchSize: 0
; MemoryBound: 0
; FloatMode: 240
; IeeeMode: 1
; LDSByteSize: 6144 bytes/workgroup (compile time only)
; SGPRBlocks: 0
; VGPRBlocks: 1
; NumSGPRsForWavesPerEU: 14
; NumVGPRsForWavesPerEU: 18
; NamedBarCnt: 0
; Occupancy: 16
; WaveLimiterHint : 1
; COMPUTE_PGM_RSRC2:SCRATCH_EN: 0
; COMPUTE_PGM_RSRC2:USER_SGPR: 2
; COMPUTE_PGM_RSRC2:TRAP_HANDLER: 0
; COMPUTE_PGM_RSRC2:TGID_X_EN: 1
; COMPUTE_PGM_RSRC2:TGID_Y_EN: 0
; COMPUTE_PGM_RSRC2:TGID_Z_EN: 0
; COMPUTE_PGM_RSRC2:TIDIG_COMP_CNT: 0
	.section	.text._ZN9rocsparseL17coomvt_aos_kernelILj1024Eld21rocsparse_complex_numIdES2_S2_EEv20rocsparse_operation_lNS_24const_host_device_scalarIT4_EEPKT0_PKT1_PKT2_PT3_21rocsparse_index_base_b,"axG",@progbits,_ZN9rocsparseL17coomvt_aos_kernelILj1024Eld21rocsparse_complex_numIdES2_S2_EEv20rocsparse_operation_lNS_24const_host_device_scalarIT4_EEPKT0_PKT1_PKT2_PT3_21rocsparse_index_base_b,comdat
	.globl	_ZN9rocsparseL17coomvt_aos_kernelILj1024Eld21rocsparse_complex_numIdES2_S2_EEv20rocsparse_operation_lNS_24const_host_device_scalarIT4_EEPKT0_PKT1_PKT2_PT3_21rocsparse_index_base_b ; -- Begin function _ZN9rocsparseL17coomvt_aos_kernelILj1024Eld21rocsparse_complex_numIdES2_S2_EEv20rocsparse_operation_lNS_24const_host_device_scalarIT4_EEPKT0_PKT1_PKT2_PT3_21rocsparse_index_base_b
	.p2align	8
	.type	_ZN9rocsparseL17coomvt_aos_kernelILj1024Eld21rocsparse_complex_numIdES2_S2_EEv20rocsparse_operation_lNS_24const_host_device_scalarIT4_EEPKT0_PKT1_PKT2_PT3_21rocsparse_index_base_b,@function
_ZN9rocsparseL17coomvt_aos_kernelILj1024Eld21rocsparse_complex_numIdES2_S2_EEv20rocsparse_operation_lNS_24const_host_device_scalarIT4_EEPKT0_PKT1_PKT2_PT3_21rocsparse_index_base_b: ; @_ZN9rocsparseL17coomvt_aos_kernelILj1024Eld21rocsparse_complex_numIdES2_S2_EEv20rocsparse_operation_lNS_24const_host_device_scalarIT4_EEPKT0_PKT1_PKT2_PT3_21rocsparse_index_base_b
; %bb.0:
	s_clause 0x1
	s_load_b64 s[8:9], s[0:1], 0x40
	s_load_b128 s[4:7], s[0:1], 0x8
	v_mov_b32_e32 v1, 0
	s_add_nc_u64 s[2:3], s[0:1], 16
	s_wait_kmcnt 0x0
	s_bitcmp1_b32 s9, 0
	s_cselect_b32 s3, s3, s7
	s_cselect_b32 s2, s2, s6
	flat_load_b128 v[2:5], v1, s[2:3]
	s_wait_loadcnt_dscnt 0x0
	v_cmp_neq_f64_e32 vcc_lo, 0, v[2:3]
	v_cmp_neq_f64_e64 s2, 0, v[4:5]
	s_or_b32 s2, vcc_lo, s2
	s_delay_alu instid0(SALU_CYCLE_1)
	s_and_saveexec_b32 s3, s2
	s_cbranch_execz .LBB68_3
; %bb.1:
	s_load_b32 s2, s[0:1], 0x54
	s_bfe_u32 s3, ttmp6, 0x4000c
	s_and_b32 s6, ttmp6, 15
	s_add_co_i32 s3, s3, 1
	s_getreg_b32 s7, hwreg(HW_REG_IB_STS2, 6, 4)
	s_mul_i32 s3, ttmp9, s3
	s_mov_b32 s9, 0
	s_add_co_i32 s6, s6, s3
	s_wait_kmcnt 0x0
	s_and_b32 s2, s2, 0xffff
	s_cmp_eq_u32 s7, 0
	s_cselect_b32 s3, ttmp9, s6
	s_delay_alu instid0(SALU_CYCLE_1) | instskip(NEXT) | instid1(VALU_DEP_1)
	v_mad_u32 v0, s3, s2, v0
	v_cmp_gt_i64_e32 vcc_lo, s[4:5], v[0:1]
	s_and_b32 exec_lo, exec_lo, vcc_lo
	s_cbranch_execz .LBB68_3
; %bb.2:
	s_load_b256 s[12:19], s[0:1], 0x20
	v_mul_f64_e32 v[14:15], 0x80000000, v[4:5]
	s_wait_kmcnt 0x0
	v_lshl_add_u64 v[6:7], v[0:1], 4, s[12:13]
	v_lshl_add_u64 v[0:1], v[0:1], 3, s[14:15]
	global_load_b128 v[6:9], v[6:7], off
	global_load_b64 v[0:1], v[0:1], off
	s_wait_loadcnt 0x1
	s_wait_xcnt 0x1
	v_sub_nc_u64_e64 v[6:7], v[6:7], s[8:9]
	s_wait_loadcnt 0x0
	v_fmac_f64_e32 v[14:15], v[2:3], v[0:1]
	s_delay_alu instid0(VALU_DEP_2) | instskip(SKIP_3) | instid1(VALU_DEP_1)
	v_lshl_add_u64 v[6:7], v[6:7], 4, s[16:17]
	global_load_b128 v[10:13], v[6:7], off
	s_wait_xcnt 0x0
	v_mul_f64_e32 v[6:7], 0, v[2:3]
	v_fmac_f64_e32 v[6:7], v[4:5], v[0:1]
	v_sub_nc_u64_e64 v[4:5], v[8:9], s[8:9]
	s_delay_alu instid0(VALU_DEP_1) | instskip(SKIP_1) | instid1(VALU_DEP_3)
	v_lshl_add_u64 v[4:5], v[4:5], 4, s[18:19]
	s_wait_loadcnt 0x0
	v_mul_f64_e64 v[0:1], v[12:13], -v[6:7]
	v_mul_f64_e32 v[2:3], v[14:15], v[12:13]
	s_delay_alu instid0(VALU_DEP_2) | instskip(NEXT) | instid1(VALU_DEP_2)
	v_fmac_f64_e32 v[0:1], v[14:15], v[10:11]
	v_fmac_f64_e32 v[2:3], v[6:7], v[10:11]
	global_atomic_add_f64 v[4:5], v[0:1], off scope:SCOPE_DEV
	s_wait_xcnt 0x0
	global_atomic_add_f64 v[4:5], v[2:3], off offset:8 scope:SCOPE_DEV
.LBB68_3:
	s_endpgm
	.section	.rodata,"a",@progbits
	.p2align	6, 0x0
	.amdhsa_kernel _ZN9rocsparseL17coomvt_aos_kernelILj1024Eld21rocsparse_complex_numIdES2_S2_EEv20rocsparse_operation_lNS_24const_host_device_scalarIT4_EEPKT0_PKT1_PKT2_PT3_21rocsparse_index_base_b
		.amdhsa_group_segment_fixed_size 0
		.amdhsa_private_segment_fixed_size 0
		.amdhsa_kernarg_size 328
		.amdhsa_user_sgpr_count 2
		.amdhsa_user_sgpr_dispatch_ptr 0
		.amdhsa_user_sgpr_queue_ptr 0
		.amdhsa_user_sgpr_kernarg_segment_ptr 1
		.amdhsa_user_sgpr_dispatch_id 0
		.amdhsa_user_sgpr_kernarg_preload_length 0
		.amdhsa_user_sgpr_kernarg_preload_offset 0
		.amdhsa_user_sgpr_private_segment_size 0
		.amdhsa_wavefront_size32 1
		.amdhsa_uses_dynamic_stack 0
		.amdhsa_enable_private_segment 0
		.amdhsa_system_sgpr_workgroup_id_x 1
		.amdhsa_system_sgpr_workgroup_id_y 0
		.amdhsa_system_sgpr_workgroup_id_z 0
		.amdhsa_system_sgpr_workgroup_info 0
		.amdhsa_system_vgpr_workitem_id 0
		.amdhsa_next_free_vgpr 16
		.amdhsa_next_free_sgpr 20
		.amdhsa_named_barrier_count 0
		.amdhsa_reserve_vcc 1
		.amdhsa_float_round_mode_32 0
		.amdhsa_float_round_mode_16_64 0
		.amdhsa_float_denorm_mode_32 3
		.amdhsa_float_denorm_mode_16_64 3
		.amdhsa_fp16_overflow 0
		.amdhsa_memory_ordered 1
		.amdhsa_forward_progress 1
		.amdhsa_inst_pref_size 3
		.amdhsa_round_robin_scheduling 0
		.amdhsa_exception_fp_ieee_invalid_op 0
		.amdhsa_exception_fp_denorm_src 0
		.amdhsa_exception_fp_ieee_div_zero 0
		.amdhsa_exception_fp_ieee_overflow 0
		.amdhsa_exception_fp_ieee_underflow 0
		.amdhsa_exception_fp_ieee_inexact 0
		.amdhsa_exception_int_div_zero 0
	.end_amdhsa_kernel
	.section	.text._ZN9rocsparseL17coomvt_aos_kernelILj1024Eld21rocsparse_complex_numIdES2_S2_EEv20rocsparse_operation_lNS_24const_host_device_scalarIT4_EEPKT0_PKT1_PKT2_PT3_21rocsparse_index_base_b,"axG",@progbits,_ZN9rocsparseL17coomvt_aos_kernelILj1024Eld21rocsparse_complex_numIdES2_S2_EEv20rocsparse_operation_lNS_24const_host_device_scalarIT4_EEPKT0_PKT1_PKT2_PT3_21rocsparse_index_base_b,comdat
.Lfunc_end68:
	.size	_ZN9rocsparseL17coomvt_aos_kernelILj1024Eld21rocsparse_complex_numIdES2_S2_EEv20rocsparse_operation_lNS_24const_host_device_scalarIT4_EEPKT0_PKT1_PKT2_PT3_21rocsparse_index_base_b, .Lfunc_end68-_ZN9rocsparseL17coomvt_aos_kernelILj1024Eld21rocsparse_complex_numIdES2_S2_EEv20rocsparse_operation_lNS_24const_host_device_scalarIT4_EEPKT0_PKT1_PKT2_PT3_21rocsparse_index_base_b
                                        ; -- End function
	.set _ZN9rocsparseL17coomvt_aos_kernelILj1024Eld21rocsparse_complex_numIdES2_S2_EEv20rocsparse_operation_lNS_24const_host_device_scalarIT4_EEPKT0_PKT1_PKT2_PT3_21rocsparse_index_base_b.num_vgpr, 16
	.set _ZN9rocsparseL17coomvt_aos_kernelILj1024Eld21rocsparse_complex_numIdES2_S2_EEv20rocsparse_operation_lNS_24const_host_device_scalarIT4_EEPKT0_PKT1_PKT2_PT3_21rocsparse_index_base_b.num_agpr, 0
	.set _ZN9rocsparseL17coomvt_aos_kernelILj1024Eld21rocsparse_complex_numIdES2_S2_EEv20rocsparse_operation_lNS_24const_host_device_scalarIT4_EEPKT0_PKT1_PKT2_PT3_21rocsparse_index_base_b.numbered_sgpr, 20
	.set _ZN9rocsparseL17coomvt_aos_kernelILj1024Eld21rocsparse_complex_numIdES2_S2_EEv20rocsparse_operation_lNS_24const_host_device_scalarIT4_EEPKT0_PKT1_PKT2_PT3_21rocsparse_index_base_b.num_named_barrier, 0
	.set _ZN9rocsparseL17coomvt_aos_kernelILj1024Eld21rocsparse_complex_numIdES2_S2_EEv20rocsparse_operation_lNS_24const_host_device_scalarIT4_EEPKT0_PKT1_PKT2_PT3_21rocsparse_index_base_b.private_seg_size, 0
	.set _ZN9rocsparseL17coomvt_aos_kernelILj1024Eld21rocsparse_complex_numIdES2_S2_EEv20rocsparse_operation_lNS_24const_host_device_scalarIT4_EEPKT0_PKT1_PKT2_PT3_21rocsparse_index_base_b.uses_vcc, 1
	.set _ZN9rocsparseL17coomvt_aos_kernelILj1024Eld21rocsparse_complex_numIdES2_S2_EEv20rocsparse_operation_lNS_24const_host_device_scalarIT4_EEPKT0_PKT1_PKT2_PT3_21rocsparse_index_base_b.uses_flat_scratch, 0
	.set _ZN9rocsparseL17coomvt_aos_kernelILj1024Eld21rocsparse_complex_numIdES2_S2_EEv20rocsparse_operation_lNS_24const_host_device_scalarIT4_EEPKT0_PKT1_PKT2_PT3_21rocsparse_index_base_b.has_dyn_sized_stack, 0
	.set _ZN9rocsparseL17coomvt_aos_kernelILj1024Eld21rocsparse_complex_numIdES2_S2_EEv20rocsparse_operation_lNS_24const_host_device_scalarIT4_EEPKT0_PKT1_PKT2_PT3_21rocsparse_index_base_b.has_recursion, 0
	.set _ZN9rocsparseL17coomvt_aos_kernelILj1024Eld21rocsparse_complex_numIdES2_S2_EEv20rocsparse_operation_lNS_24const_host_device_scalarIT4_EEPKT0_PKT1_PKT2_PT3_21rocsparse_index_base_b.has_indirect_call, 0
	.section	.AMDGPU.csdata,"",@progbits
; Kernel info:
; codeLenInByte = 372
; TotalNumSgprs: 22
; NumVgprs: 16
; ScratchSize: 0
; MemoryBound: 0
; FloatMode: 240
; IeeeMode: 1
; LDSByteSize: 0 bytes/workgroup (compile time only)
; SGPRBlocks: 0
; VGPRBlocks: 0
; NumSGPRsForWavesPerEU: 22
; NumVGPRsForWavesPerEU: 16
; NamedBarCnt: 0
; Occupancy: 16
; WaveLimiterHint : 1
; COMPUTE_PGM_RSRC2:SCRATCH_EN: 0
; COMPUTE_PGM_RSRC2:USER_SGPR: 2
; COMPUTE_PGM_RSRC2:TRAP_HANDLER: 0
; COMPUTE_PGM_RSRC2:TGID_X_EN: 1
; COMPUTE_PGM_RSRC2:TGID_Y_EN: 0
; COMPUTE_PGM_RSRC2:TGID_Z_EN: 0
; COMPUTE_PGM_RSRC2:TIDIG_COMP_CNT: 0
	.section	.text._ZN9rocsparseL26coomvn_aos_segmented_loopsILj256Eld21rocsparse_complex_numIdES2_S2_EEvlT0_NS_24const_host_device_scalarIT4_EEPKS3_PKT1_PKT2_PT3_PS3_PS5_21rocsparse_index_base_b,"axG",@progbits,_ZN9rocsparseL26coomvn_aos_segmented_loopsILj256Eld21rocsparse_complex_numIdES2_S2_EEvlT0_NS_24const_host_device_scalarIT4_EEPKS3_PKT1_PKT2_PT3_PS3_PS5_21rocsparse_index_base_b,comdat
	.globl	_ZN9rocsparseL26coomvn_aos_segmented_loopsILj256Eld21rocsparse_complex_numIdES2_S2_EEvlT0_NS_24const_host_device_scalarIT4_EEPKS3_PKT1_PKT2_PT3_PS3_PS5_21rocsparse_index_base_b ; -- Begin function _ZN9rocsparseL26coomvn_aos_segmented_loopsILj256Eld21rocsparse_complex_numIdES2_S2_EEvlT0_NS_24const_host_device_scalarIT4_EEPKS3_PKT1_PKT2_PT3_PS3_PS5_21rocsparse_index_base_b
	.p2align	8
	.type	_ZN9rocsparseL26coomvn_aos_segmented_loopsILj256Eld21rocsparse_complex_numIdES2_S2_EEvlT0_NS_24const_host_device_scalarIT4_EEPKS3_PKT1_PKT2_PT3_PS3_PS5_21rocsparse_index_base_b,@function
_ZN9rocsparseL26coomvn_aos_segmented_loopsILj256Eld21rocsparse_complex_numIdES2_S2_EEvlT0_NS_24const_host_device_scalarIT4_EEPKS3_PKT1_PKT2_PT3_PS3_PS5_21rocsparse_index_base_b: ; @_ZN9rocsparseL26coomvn_aos_segmented_loopsILj256Eld21rocsparse_complex_numIdES2_S2_EEvlT0_NS_24const_host_device_scalarIT4_EEPKS3_PKT1_PKT2_PT3_PS3_PS5_21rocsparse_index_base_b
; %bb.0:
	s_clause 0x1
	s_load_b64 s[14:15], s[0:1], 0x50
	s_load_b64 s[2:3], s[0:1], 0x10
	v_mov_b32_e32 v1, 0
	s_add_nc_u64 s[4:5], s[0:1], 16
	s_wait_kmcnt 0x0
	s_bitcmp1_b32 s15, 0
	s_cselect_b32 s3, s5, s3
	s_cselect_b32 s2, s4, s2
	flat_load_b128 v[2:5], v1, s[2:3]
	s_wait_loadcnt_dscnt 0x0
	v_cmp_neq_f64_e32 vcc_lo, 0, v[2:3]
	v_cmp_neq_f64_e64 s2, 0, v[4:5]
	s_or_b32 s2, vcc_lo, s2
	s_delay_alu instid0(SALU_CYCLE_1)
	s_and_saveexec_b32 s3, s2
	s_cbranch_execz .LBB69_87
; %bb.1:
	s_clause 0x1
	s_load_b128 s[16:19], s[0:1], 0x0
	s_load_b128 s[20:23], s[0:1], 0x20
	s_bfe_u32 s2, ttmp6, 0x4000c
	s_load_b64 s[28:29], s[0:1], 0x30
	s_add_co_i32 s2, s2, 1
	s_and_b32 s3, ttmp6, 15
	s_mul_i32 s2, ttmp9, s2
	s_getreg_b32 s4, hwreg(HW_REG_IB_STS2, 6, 4)
	s_add_co_i32 s3, s3, s2
	v_mov_b64_e32 v[6:7], 0
	s_cmp_eq_u32 s4, 0
	s_mov_b32 s25, 0
	s_cselect_b32 s24, ttmp9, s3
	v_mov_b64_e32 v[14:15], -1
	s_delay_alu instid0(VALU_DEP_2) | instskip(SKIP_2) | instid1(SALU_CYCLE_1)
	v_mov_b64_e32 v[8:9], v[6:7]
	s_wait_kmcnt 0x0
	s_mul_u64 s[30:31], s[24:25], s[18:19]
	s_lshl_b64 s[2:3], s[30:31], 8
	s_delay_alu instid0(SALU_CYCLE_1) | instskip(SKIP_1) | instid1(VALU_DEP_1)
	v_dual_mov_b32 v17, s3 :: v_dual_bitop2_b32 v16, s2, v0 bitop3:0x54
	s_mov_b32 s2, exec_lo
	v_cmpx_gt_i64_e64 s[16:17], v[16:17]
	s_cbranch_execz .LBB69_3
; %bb.2:
	v_lshl_add_u64 v[6:7], v[16:17], 4, s[20:21]
	s_mov_b32 s15, s25
	global_load_b128 v[6:9], v[6:7], off th:TH_LOAD_NT
	s_wait_loadcnt 0x0
	v_sub_nc_u64_e64 v[14:15], v[6:7], s[14:15]
	v_lshl_add_u64 v[6:7], v[8:9], 4, s[28:29]
	s_ashr_i32 s15, s14, 31
	v_lshl_add_u64 v[8:9], v[16:17], 3, s[22:23]
	s_lshl_b64 s[4:5], s[14:15], 4
	s_delay_alu instid0(VALU_DEP_2) | instid1(SALU_CYCLE_1)
	v_sub_nc_u64_e64 v[6:7], v[6:7], s[4:5]
	global_load_b128 v[10:13], v[6:7], off
	global_load_b64 v[18:19], v[8:9], off th:TH_LOAD_NT
	s_wait_loadcnt 0x1
	s_wait_xcnt 0x1
	v_mul_f64_e32 v[6:7], 0x80000000, v[12:13]
	s_wait_loadcnt 0x0
	v_mul_f64_e32 v[8:9], v[18:19], v[12:13]
	s_delay_alu instid0(VALU_DEP_2) | instskip(NEXT) | instid1(VALU_DEP_2)
	v_fmac_f64_e32 v[6:7], v[18:19], v[10:11]
	v_fmac_f64_e32 v[8:9], 0, v[10:11]
.LBB69_3:
	s_or_b32 exec_lo, exec_lo, s2
	v_dual_lshlrev_b32 v10, 3, v0 :: v_dual_lshlrev_b32 v12, 4, v0
	v_cmp_eq_u32_e64 s2, 0, v0
	v_cmp_ne_u32_e64 s3, 0, v0
	ds_store_b64 v10, v[14:15] offset:4096
	ds_store_b128 v12, v[6:9]
	v_or_b32_e32 v1, 0x1000, v10
	s_wait_dscnt 0x0
	s_barrier_signal -1
	s_barrier_wait -1
	s_delay_alu instid0(VALU_DEP_1)
	v_add_nc_u32_e32 v24, -8, v1
	s_and_saveexec_b32 s4, s3
	s_cbranch_execz .LBB69_7
; %bb.4:
	ds_load_b64 v[18:19], v24
	s_mov_b32 s5, exec_lo
	s_wait_dscnt 0x0
	v_cmpx_eq_u64_e64 v[14:15], v[18:19]
	s_cbranch_execz .LBB69_6
; %bb.5:
	v_add_nc_u32_e32 v11, -16, v12
	ds_load_b128 v[18:21], v11
	s_wait_dscnt 0x0
	v_add_f64_e32 v[6:7], v[6:7], v[18:19]
	v_add_f64_e32 v[8:9], v[8:9], v[20:21]
.LBB69_6:
	s_or_b32 exec_lo, exec_lo, s5
.LBB69_7:
	s_delay_alu instid0(SALU_CYCLE_1)
	s_or_b32 exec_lo, exec_lo, s4
	v_cmp_lt_u32_e64 s4, 1, v0
	v_add_nc_u32_e32 v25, -16, v1
	s_barrier_signal -1
	s_barrier_wait -1
	ds_store_b128 v12, v[6:9]
	s_wait_dscnt 0x0
	s_barrier_signal -1
	s_barrier_wait -1
	s_and_saveexec_b32 s5, s4
	s_cbranch_execz .LBB69_11
; %bb.8:
	ds_load_b64 v[18:19], v25
	s_mov_b32 s6, exec_lo
	s_wait_dscnt 0x0
	v_cmpx_eq_u64_e64 v[14:15], v[18:19]
	s_cbranch_execz .LBB69_10
; %bb.9:
	v_subrev_nc_u32_e32 v11, 32, v12
	ds_load_b128 v[18:21], v11
	s_wait_dscnt 0x0
	v_add_f64_e32 v[6:7], v[6:7], v[18:19]
	v_add_f64_e32 v[8:9], v[8:9], v[20:21]
.LBB69_10:
	s_or_b32 exec_lo, exec_lo, s6
.LBB69_11:
	s_delay_alu instid0(SALU_CYCLE_1)
	s_or_b32 exec_lo, exec_lo, s5
	v_cmp_lt_u32_e64 s5, 3, v0
	v_subrev_nc_u32_e32 v26, 32, v1
	s_barrier_signal -1
	s_barrier_wait -1
	ds_store_b128 v12, v[6:9]
	s_wait_dscnt 0x0
	s_barrier_signal -1
	s_barrier_wait -1
	s_and_saveexec_b32 s6, s5
	s_cbranch_execz .LBB69_15
; %bb.12:
	ds_load_b64 v[18:19], v26
	s_mov_b32 s7, exec_lo
	s_wait_dscnt 0x0
	v_cmpx_eq_u64_e64 v[14:15], v[18:19]
	s_cbranch_execz .LBB69_14
; %bb.13:
	v_subrev_nc_u32_e32 v11, 64, v12
	ds_load_b128 v[18:21], v11
	s_wait_dscnt 0x0
	v_add_f64_e32 v[6:7], v[6:7], v[18:19]
	v_add_f64_e32 v[8:9], v[8:9], v[20:21]
.LBB69_14:
	s_or_b32 exec_lo, exec_lo, s7
.LBB69_15:
	s_delay_alu instid0(SALU_CYCLE_1)
	s_or_b32 exec_lo, exec_lo, s6
	v_cmp_lt_u32_e64 s6, 7, v0
	v_subrev_nc_u32_e32 v27, 64, v1
	s_barrier_signal -1
	s_barrier_wait -1
	ds_store_b128 v12, v[6:9]
	s_wait_dscnt 0x0
	s_barrier_signal -1
	s_barrier_wait -1
	s_and_saveexec_b32 s7, s6
	s_cbranch_execz .LBB69_19
; %bb.16:
	ds_load_b64 v[18:19], v27
	s_mov_b32 s8, exec_lo
	s_wait_dscnt 0x0
	v_cmpx_eq_u64_e64 v[14:15], v[18:19]
	s_cbranch_execz .LBB69_18
; %bb.17:
	v_add_nc_u32_e32 v11, 0xffffff80, v12
	ds_load_b128 v[18:21], v11
	s_wait_dscnt 0x0
	v_add_f64_e32 v[6:7], v[6:7], v[18:19]
	v_add_f64_e32 v[8:9], v[8:9], v[20:21]
.LBB69_18:
	s_or_b32 exec_lo, exec_lo, s8
.LBB69_19:
	s_delay_alu instid0(SALU_CYCLE_1)
	s_or_b32 exec_lo, exec_lo, s7
	v_cmp_lt_u32_e64 s7, 15, v0
	v_add_nc_u32_e32 v28, 0xffffff80, v1
	s_barrier_signal -1
	s_barrier_wait -1
	ds_store_b128 v12, v[6:9]
	s_wait_dscnt 0x0
	s_barrier_signal -1
	s_barrier_wait -1
	s_and_saveexec_b32 s8, s7
	s_cbranch_execz .LBB69_23
; %bb.20:
	ds_load_b64 v[18:19], v28
	s_mov_b32 s9, exec_lo
	s_wait_dscnt 0x0
	v_cmpx_eq_u64_e64 v[14:15], v[18:19]
	s_cbranch_execz .LBB69_22
; %bb.21:
	v_add_nc_u32_e32 v11, 0xffffff00, v12
	ds_load_b128 v[18:21], v11
	s_wait_dscnt 0x0
	v_add_f64_e32 v[6:7], v[6:7], v[18:19]
	v_add_f64_e32 v[8:9], v[8:9], v[20:21]
.LBB69_22:
	s_or_b32 exec_lo, exec_lo, s9
.LBB69_23:
	s_delay_alu instid0(SALU_CYCLE_1)
	s_or_b32 exec_lo, exec_lo, s8
	v_cmp_lt_u32_e64 s8, 31, v0
	v_add_nc_u32_e32 v29, 0xffffff00, v1
	s_barrier_signal -1
	s_barrier_wait -1
	ds_store_b128 v12, v[6:9]
	s_wait_dscnt 0x0
	s_barrier_signal -1
	s_barrier_wait -1
	s_and_saveexec_b32 s9, s8
	s_cbranch_execz .LBB69_27
; %bb.24:
	ds_load_b64 v[18:19], v29
	s_mov_b32 s10, exec_lo
	s_wait_dscnt 0x0
	v_cmpx_eq_u64_e64 v[14:15], v[18:19]
	s_cbranch_execz .LBB69_26
; %bb.25:
	v_add_nc_u32_e32 v11, 0xfffffe00, v12
	ds_load_b128 v[18:21], v11
	s_wait_dscnt 0x0
	v_add_f64_e32 v[6:7], v[6:7], v[18:19]
	v_add_f64_e32 v[8:9], v[8:9], v[20:21]
.LBB69_26:
	s_or_b32 exec_lo, exec_lo, s10
.LBB69_27:
	s_delay_alu instid0(SALU_CYCLE_1)
	s_or_b32 exec_lo, exec_lo, s9
	v_cmp_lt_u32_e64 s9, 63, v0
	v_add_nc_u32_e32 v30, 0xfffffe00, v1
	s_barrier_signal -1
	s_barrier_wait -1
	ds_store_b128 v12, v[6:9]
	s_wait_dscnt 0x0
	s_barrier_signal -1
	s_barrier_wait -1
	s_and_saveexec_b32 s10, s9
	s_cbranch_execz .LBB69_31
; %bb.28:
	ds_load_b64 v[18:19], v30
	s_mov_b32 s11, exec_lo
	s_wait_dscnt 0x0
	v_cmpx_eq_u64_e64 v[14:15], v[18:19]
	s_cbranch_execz .LBB69_30
; %bb.29:
	v_add_nc_u32_e32 v11, 0xfffffc00, v12
	ds_load_b128 v[18:21], v11
	s_wait_dscnt 0x0
	v_add_f64_e32 v[6:7], v[6:7], v[18:19]
	v_add_f64_e32 v[8:9], v[8:9], v[20:21]
.LBB69_30:
	s_or_b32 exec_lo, exec_lo, s11
.LBB69_31:
	s_delay_alu instid0(SALU_CYCLE_1)
	s_or_b32 exec_lo, exec_lo, s10
	v_cmp_lt_u32_e64 s10, 0x7f, v0
	v_add_nc_u32_e32 v31, 0xfffffc00, v1
	s_barrier_signal -1
	s_barrier_wait -1
	ds_store_b128 v12, v[6:9]
	s_wait_dscnt 0x0
	s_barrier_signal -1
	s_barrier_wait -1
	s_and_saveexec_b32 s11, s10
	s_cbranch_execz .LBB69_35
; %bb.32:
	ds_load_b64 v[18:19], v31
	s_mov_b32 s12, exec_lo
	s_wait_dscnt 0x0
	v_cmpx_eq_u64_e64 v[14:15], v[18:19]
	s_cbranch_execz .LBB69_34
; %bb.33:
	v_add_nc_u32_e32 v11, 0xfffff800, v12
	ds_load_b128 v[18:21], v11
	s_wait_dscnt 0x0
	v_add_f64_e32 v[6:7], v[6:7], v[18:19]
	v_add_f64_e32 v[8:9], v[8:9], v[20:21]
.LBB69_34:
	s_or_b32 exec_lo, exec_lo, s12
.LBB69_35:
	s_delay_alu instid0(SALU_CYCLE_1)
	s_or_b32 exec_lo, exec_lo, s11
	s_load_b64 s[26:27], s[0:1], 0x38
	v_cmp_gt_u32_e64 s11, 0xff, v0
	s_barrier_signal -1
	s_barrier_wait -1
	ds_store_b128 v12, v[6:9]
	s_wait_dscnt 0x0
	s_barrier_signal -1
	s_barrier_wait -1
	s_and_saveexec_b32 s13, s11
	s_cbranch_execz .LBB69_38
; %bb.36:
	ds_load_b64 v[18:19], v1 offset:8
	v_cmp_lt_i64_e64 s12, -1, v[14:15]
	s_wait_dscnt 0x0
	v_cmp_ne_u64_e32 vcc_lo, v[14:15], v[18:19]
	s_and_b32 s12, s12, vcc_lo
	s_delay_alu instid0(SALU_CYCLE_1)
	s_and_b32 exec_lo, exec_lo, s12
	s_cbranch_execz .LBB69_38
; %bb.37:
	s_wait_kmcnt 0x0
	v_lshl_add_u64 v[22:23], v[14:15], 4, s[26:27]
	global_load_b128 v[18:21], v[22:23], off
	s_wait_loadcnt 0x0
	v_fmac_f64_e32 v[18:19], v[2:3], v[6:7]
	v_fmac_f64_e32 v[20:21], v[4:5], v[6:7]
	s_delay_alu instid0(VALU_DEP_2) | instskip(NEXT) | instid1(VALU_DEP_2)
	v_fma_f64 v[18:19], -v[4:5], v[8:9], v[18:19]
	v_fmac_f64_e32 v[20:21], v[2:3], v[8:9]
	global_store_b128 v[22:23], v[18:21], off
.LBB69_38:
	s_wait_xcnt 0x0
	s_or_b32 exec_lo, exec_lo, s13
	v_cmp_lt_i64_e64 s12, s[18:19], 2
	s_and_b32 vcc_lo, exec_lo, s12
	s_cbranch_vccnz .LBB69_85
; %bb.39:
	v_dual_mov_b32 v11, 0 :: v_dual_add_nc_u32 v32, -16, v12
	s_lshl_b64 s[34:35], s[30:31], 11
	s_lshl_b64 s[30:31], s[30:31], 12
	s_add_nc_u64 s[22:23], s[22:23], s[34:35]
	s_delay_alu instid0(VALU_DEP_1) | instskip(SKIP_3) | instid1(VALU_DEP_3)
	v_dual_mov_b32 v13, v11 :: v_dual_add_nc_u32 v34, 0xffffff00, v12
	s_add_nc_u64 s[20:21], s[20:21], s[30:31]
	v_add_nc_u64_e32 v[6:7], s[22:23], v[10:11]
	v_add_nc_u64_e32 v[16:17], 0x100, v[16:17]
	;; [unrolled: 1-line block ×3, first 2 shown]
	s_ashr_i32 s13, s14, 31
	s_mov_b32 s12, s14
	v_subrev_nc_u32_e32 v10, 32, v12
	v_subrev_nc_u32_e32 v13, 64, v12
	v_add_nc_u64_e32 v[18:19], 0x800, v[6:7]
	v_add_nc_u32_e32 v33, 0xffffff80, v12
	v_add_nc_u64_e32 v[20:21], 0x1000, v[8:9]
	v_add_nc_u32_e32 v35, 0xfffffe00, v12
	v_add_nc_u32_e32 v36, 0xfffffc00, v12
	;; [unrolled: 1-line block ×3, first 2 shown]
	s_lshl_b64 s[12:13], s[12:13], 4
	s_add_nc_u64 s[18:19], s[18:19], -1
	s_mov_b32 s15, 0
	s_sub_nc_u64 s[20:21], s[28:29], s[12:13]
	s_mov_b64 s[22:23], 0
	s_branch .LBB69_41
.LBB69_40:                              ;   in Loop: Header=BB69_41 Depth=1
	s_wait_xcnt 0x0
	s_or_b32 exec_lo, exec_lo, s13
	s_add_nc_u64 s[22:23], s[22:23], 1
	v_add_nc_u64_e32 v[18:19], 0x800, v[18:19]
	v_cmp_le_u64_e64 s12, s[18:19], s[22:23]
	v_add_nc_u64_e32 v[20:21], 0x1000, v[20:21]
	v_add_nc_u64_e32 v[16:17], 0x100, v[16:17]
	s_and_b32 vcc_lo, exec_lo, s12
	s_cbranch_vccnz .LBB69_85
.LBB69_41:                              ; =>This Inner Loop Header: Depth=1
	v_mov_b64_e32 v[14:15], -1
	v_mov_b64_e32 v[6:7], 0
	v_mov_b64_e32 v[8:9], 0
	s_mov_b32 s12, exec_lo
	v_cmpx_gt_i64_e64 s[16:17], v[16:17]
	s_cbranch_execz .LBB69_43
; %bb.42:                               ;   in Loop: Header=BB69_41 Depth=1
	global_load_b128 v[38:41], v[20:21], off th:TH_LOAD_NT
	s_wait_loadcnt 0x0
	v_lshl_add_u64 v[6:7], v[40:41], 4, s[20:21]
	global_load_b128 v[40:43], v[6:7], off
	global_load_b64 v[14:15], v[18:19], off th:TH_LOAD_NT
	s_wait_loadcnt 0x1
	s_wait_xcnt 0x1
	v_mul_f64_e32 v[6:7], 0x80000000, v[42:43]
	s_wait_loadcnt 0x0
	v_mul_f64_e32 v[8:9], v[14:15], v[42:43]
	s_delay_alu instid0(VALU_DEP_2) | instskip(NEXT) | instid1(VALU_DEP_2)
	v_fmac_f64_e32 v[6:7], v[14:15], v[40:41]
	v_fmac_f64_e32 v[8:9], 0, v[40:41]
	v_sub_nc_u64_e64 v[14:15], v[38:39], s[14:15]
.LBB69_43:                              ;   in Loop: Header=BB69_41 Depth=1
	s_wait_xcnt 0x0
	s_or_b32 exec_lo, exec_lo, s12
	s_and_saveexec_b32 s12, s2
	s_cbranch_execz .LBB69_50
; %bb.44:                               ;   in Loop: Header=BB69_41 Depth=1
	ds_load_b64 v[22:23], v11 offset:6136
	s_mov_b32 s13, exec_lo
	s_wait_dscnt 0x0
	v_cmpx_ne_u64_e64 v[14:15], v[22:23]
	s_xor_b32 s13, exec_lo, s13
	s_cbranch_execz .LBB69_47
; %bb.45:                               ;   in Loop: Header=BB69_41 Depth=1
	v_cmp_gt_i64_e32 vcc_lo, 0, v[22:23]
	s_cbranch_vccnz .LBB69_47
; %bb.46:                               ;   in Loop: Header=BB69_41 Depth=1
	v_lshlrev_b64_e32 v[22:23], 4, v[22:23]
	ds_load_b128 v[42:45], v11 offset:4080
	s_wait_kmcnt 0x0
	v_add_nc_u64_e32 v[22:23], s[26:27], v[22:23]
	global_load_b128 v[38:41], v[22:23], off
	s_wait_loadcnt_dscnt 0x0
	v_fmac_f64_e32 v[38:39], v[2:3], v[42:43]
	v_fmac_f64_e32 v[40:41], v[4:5], v[42:43]
	s_delay_alu instid0(VALU_DEP_2) | instskip(NEXT) | instid1(VALU_DEP_2)
	v_fma_f64 v[38:39], -v[4:5], v[44:45], v[38:39]
	v_fmac_f64_e32 v[40:41], v[2:3], v[44:45]
	global_store_b128 v[22:23], v[38:41], off
.LBB69_47:                              ;   in Loop: Header=BB69_41 Depth=1
	s_wait_xcnt 0x0
	s_and_not1_saveexec_b32 s13, s13
	s_cbranch_execz .LBB69_49
; %bb.48:                               ;   in Loop: Header=BB69_41 Depth=1
	ds_load_b128 v[38:41], v11 offset:4080
	s_wait_dscnt 0x0
	v_add_f64_e32 v[6:7], v[6:7], v[38:39]
	v_add_f64_e32 v[8:9], v[8:9], v[40:41]
.LBB69_49:                              ;   in Loop: Header=BB69_41 Depth=1
	s_or_b32 exec_lo, exec_lo, s13
.LBB69_50:                              ;   in Loop: Header=BB69_41 Depth=1
	s_delay_alu instid0(SALU_CYCLE_1)
	s_or_b32 exec_lo, exec_lo, s12
	s_wait_storecnt 0x0
	s_barrier_signal -1
	s_barrier_wait -1
	ds_store_b64 v1, v[14:15]
	ds_store_b128 v12, v[6:9]
	s_wait_dscnt 0x0
	s_barrier_signal -1
	s_barrier_wait -1
	s_and_saveexec_b32 s12, s3
	s_cbranch_execz .LBB69_54
; %bb.51:                               ;   in Loop: Header=BB69_41 Depth=1
	ds_load_b64 v[22:23], v24
	s_mov_b32 s13, exec_lo
	s_wait_dscnt 0x0
	v_cmpx_eq_u64_e64 v[14:15], v[22:23]
	s_cbranch_execz .LBB69_53
; %bb.52:                               ;   in Loop: Header=BB69_41 Depth=1
	ds_load_b128 v[38:41], v32
	s_wait_dscnt 0x0
	v_add_f64_e32 v[6:7], v[6:7], v[38:39]
	v_add_f64_e32 v[8:9], v[8:9], v[40:41]
.LBB69_53:                              ;   in Loop: Header=BB69_41 Depth=1
	s_or_b32 exec_lo, exec_lo, s13
.LBB69_54:                              ;   in Loop: Header=BB69_41 Depth=1
	s_delay_alu instid0(SALU_CYCLE_1)
	s_or_b32 exec_lo, exec_lo, s12
	s_barrier_signal -1
	s_barrier_wait -1
	ds_store_b128 v12, v[6:9]
	s_wait_dscnt 0x0
	s_barrier_signal -1
	s_barrier_wait -1
	s_and_saveexec_b32 s12, s4
	s_cbranch_execz .LBB69_58
; %bb.55:                               ;   in Loop: Header=BB69_41 Depth=1
	ds_load_b64 v[22:23], v25
	s_mov_b32 s13, exec_lo
	s_wait_dscnt 0x0
	v_cmpx_eq_u64_e64 v[14:15], v[22:23]
	s_cbranch_execz .LBB69_57
; %bb.56:                               ;   in Loop: Header=BB69_41 Depth=1
	ds_load_b128 v[38:41], v10
	s_wait_dscnt 0x0
	v_add_f64_e32 v[6:7], v[6:7], v[38:39]
	v_add_f64_e32 v[8:9], v[8:9], v[40:41]
.LBB69_57:                              ;   in Loop: Header=BB69_41 Depth=1
	s_or_b32 exec_lo, exec_lo, s13
.LBB69_58:                              ;   in Loop: Header=BB69_41 Depth=1
	s_delay_alu instid0(SALU_CYCLE_1)
	s_or_b32 exec_lo, exec_lo, s12
	s_barrier_signal -1
	s_barrier_wait -1
	;; [unrolled: 24-line block ×8, first 2 shown]
	ds_store_b128 v12, v[6:9]
	s_wait_dscnt 0x0
	s_barrier_signal -1
	s_barrier_wait -1
	s_and_saveexec_b32 s13, s11
	s_cbranch_execz .LBB69_40
; %bb.83:                               ;   in Loop: Header=BB69_41 Depth=1
	ds_load_b64 v[22:23], v1 offset:8
	v_cmp_lt_i64_e64 s12, -1, v[14:15]
	s_wait_dscnt 0x0
	v_cmp_ne_u64_e32 vcc_lo, v[14:15], v[22:23]
	s_and_b32 s12, s12, vcc_lo
	s_delay_alu instid0(SALU_CYCLE_1)
	s_and_b32 exec_lo, exec_lo, s12
	s_cbranch_execz .LBB69_40
; %bb.84:                               ;   in Loop: Header=BB69_41 Depth=1
	s_wait_kmcnt 0x0
	v_lshl_add_u64 v[22:23], v[14:15], 4, s[26:27]
	global_load_b128 v[38:41], v[22:23], off
	s_wait_loadcnt 0x0
	v_fmac_f64_e32 v[38:39], v[2:3], v[6:7]
	v_fmac_f64_e32 v[40:41], v[4:5], v[6:7]
	s_delay_alu instid0(VALU_DEP_2) | instskip(NEXT) | instid1(VALU_DEP_2)
	v_fma_f64 v[38:39], -v[4:5], v[8:9], v[38:39]
	v_fmac_f64_e32 v[40:41], v[2:3], v[8:9]
	global_store_b128 v[22:23], v[38:41], off
	s_branch .LBB69_40
.LBB69_85:
	s_load_b128 s[4:7], s[0:1], 0x40
	v_cmp_eq_u32_e32 vcc_lo, 0xff, v0
	s_and_b32 exec_lo, exec_lo, vcc_lo
	s_cbranch_execz .LBB69_87
; %bb.86:
	v_dual_mul_f64 v[10:11], v[8:9], -v[4:5] :: v_dual_mov_b32 v0, 0
	v_mul_f64_e32 v[12:13], v[2:3], v[8:9]
	s_wait_xcnt 0x0
	s_lshl_b64 s[0:1], s[24:25], 3
	s_lshl_b64 s[2:3], s[24:25], 4
	s_wait_kmcnt 0x0
	s_add_nc_u64 s[0:1], s[4:5], s[0:1]
	s_add_nc_u64 s[2:3], s[6:7], s[2:3]
	s_delay_alu instid0(VALU_DEP_2) | instskip(NEXT) | instid1(VALU_DEP_2)
	v_fmac_f64_e32 v[10:11], v[2:3], v[6:7]
	v_fmac_f64_e32 v[12:13], v[4:5], v[6:7]
	s_clause 0x1
	global_store_b64 v0, v[14:15], s[0:1] th:TH_STORE_NT
	global_store_b128 v0, v[10:13], s[2:3] th:TH_STORE_NT
.LBB69_87:
	s_endpgm
	.section	.rodata,"a",@progbits
	.p2align	6, 0x0
	.amdhsa_kernel _ZN9rocsparseL26coomvn_aos_segmented_loopsILj256Eld21rocsparse_complex_numIdES2_S2_EEvlT0_NS_24const_host_device_scalarIT4_EEPKS3_PKT1_PKT2_PT3_PS3_PS5_21rocsparse_index_base_b
		.amdhsa_group_segment_fixed_size 6144
		.amdhsa_private_segment_fixed_size 0
		.amdhsa_kernarg_size 88
		.amdhsa_user_sgpr_count 2
		.amdhsa_user_sgpr_dispatch_ptr 0
		.amdhsa_user_sgpr_queue_ptr 0
		.amdhsa_user_sgpr_kernarg_segment_ptr 1
		.amdhsa_user_sgpr_dispatch_id 0
		.amdhsa_user_sgpr_kernarg_preload_length 0
		.amdhsa_user_sgpr_kernarg_preload_offset 0
		.amdhsa_user_sgpr_private_segment_size 0
		.amdhsa_wavefront_size32 1
		.amdhsa_uses_dynamic_stack 0
		.amdhsa_enable_private_segment 0
		.amdhsa_system_sgpr_workgroup_id_x 1
		.amdhsa_system_sgpr_workgroup_id_y 0
		.amdhsa_system_sgpr_workgroup_id_z 0
		.amdhsa_system_sgpr_workgroup_info 0
		.amdhsa_system_vgpr_workitem_id 0
		.amdhsa_next_free_vgpr 46
		.amdhsa_next_free_sgpr 36
		.amdhsa_named_barrier_count 0
		.amdhsa_reserve_vcc 1
		.amdhsa_float_round_mode_32 0
		.amdhsa_float_round_mode_16_64 0
		.amdhsa_float_denorm_mode_32 3
		.amdhsa_float_denorm_mode_16_64 3
		.amdhsa_fp16_overflow 0
		.amdhsa_memory_ordered 1
		.amdhsa_forward_progress 1
		.amdhsa_inst_pref_size 24
		.amdhsa_round_robin_scheduling 0
		.amdhsa_exception_fp_ieee_invalid_op 0
		.amdhsa_exception_fp_denorm_src 0
		.amdhsa_exception_fp_ieee_div_zero 0
		.amdhsa_exception_fp_ieee_overflow 0
		.amdhsa_exception_fp_ieee_underflow 0
		.amdhsa_exception_fp_ieee_inexact 0
		.amdhsa_exception_int_div_zero 0
	.end_amdhsa_kernel
	.section	.text._ZN9rocsparseL26coomvn_aos_segmented_loopsILj256Eld21rocsparse_complex_numIdES2_S2_EEvlT0_NS_24const_host_device_scalarIT4_EEPKS3_PKT1_PKT2_PT3_PS3_PS5_21rocsparse_index_base_b,"axG",@progbits,_ZN9rocsparseL26coomvn_aos_segmented_loopsILj256Eld21rocsparse_complex_numIdES2_S2_EEvlT0_NS_24const_host_device_scalarIT4_EEPKS3_PKT1_PKT2_PT3_PS3_PS5_21rocsparse_index_base_b,comdat
.Lfunc_end69:
	.size	_ZN9rocsparseL26coomvn_aos_segmented_loopsILj256Eld21rocsparse_complex_numIdES2_S2_EEvlT0_NS_24const_host_device_scalarIT4_EEPKS3_PKT1_PKT2_PT3_PS3_PS5_21rocsparse_index_base_b, .Lfunc_end69-_ZN9rocsparseL26coomvn_aos_segmented_loopsILj256Eld21rocsparse_complex_numIdES2_S2_EEvlT0_NS_24const_host_device_scalarIT4_EEPKS3_PKT1_PKT2_PT3_PS3_PS5_21rocsparse_index_base_b
                                        ; -- End function
	.set _ZN9rocsparseL26coomvn_aos_segmented_loopsILj256Eld21rocsparse_complex_numIdES2_S2_EEvlT0_NS_24const_host_device_scalarIT4_EEPKS3_PKT1_PKT2_PT3_PS3_PS5_21rocsparse_index_base_b.num_vgpr, 46
	.set _ZN9rocsparseL26coomvn_aos_segmented_loopsILj256Eld21rocsparse_complex_numIdES2_S2_EEvlT0_NS_24const_host_device_scalarIT4_EEPKS3_PKT1_PKT2_PT3_PS3_PS5_21rocsparse_index_base_b.num_agpr, 0
	.set _ZN9rocsparseL26coomvn_aos_segmented_loopsILj256Eld21rocsparse_complex_numIdES2_S2_EEvlT0_NS_24const_host_device_scalarIT4_EEPKS3_PKT1_PKT2_PT3_PS3_PS5_21rocsparse_index_base_b.numbered_sgpr, 36
	.set _ZN9rocsparseL26coomvn_aos_segmented_loopsILj256Eld21rocsparse_complex_numIdES2_S2_EEvlT0_NS_24const_host_device_scalarIT4_EEPKS3_PKT1_PKT2_PT3_PS3_PS5_21rocsparse_index_base_b.num_named_barrier, 0
	.set _ZN9rocsparseL26coomvn_aos_segmented_loopsILj256Eld21rocsparse_complex_numIdES2_S2_EEvlT0_NS_24const_host_device_scalarIT4_EEPKS3_PKT1_PKT2_PT3_PS3_PS5_21rocsparse_index_base_b.private_seg_size, 0
	.set _ZN9rocsparseL26coomvn_aos_segmented_loopsILj256Eld21rocsparse_complex_numIdES2_S2_EEvlT0_NS_24const_host_device_scalarIT4_EEPKS3_PKT1_PKT2_PT3_PS3_PS5_21rocsparse_index_base_b.uses_vcc, 1
	.set _ZN9rocsparseL26coomvn_aos_segmented_loopsILj256Eld21rocsparse_complex_numIdES2_S2_EEvlT0_NS_24const_host_device_scalarIT4_EEPKS3_PKT1_PKT2_PT3_PS3_PS5_21rocsparse_index_base_b.uses_flat_scratch, 0
	.set _ZN9rocsparseL26coomvn_aos_segmented_loopsILj256Eld21rocsparse_complex_numIdES2_S2_EEvlT0_NS_24const_host_device_scalarIT4_EEPKS3_PKT1_PKT2_PT3_PS3_PS5_21rocsparse_index_base_b.has_dyn_sized_stack, 0
	.set _ZN9rocsparseL26coomvn_aos_segmented_loopsILj256Eld21rocsparse_complex_numIdES2_S2_EEvlT0_NS_24const_host_device_scalarIT4_EEPKS3_PKT1_PKT2_PT3_PS3_PS5_21rocsparse_index_base_b.has_recursion, 0
	.set _ZN9rocsparseL26coomvn_aos_segmented_loopsILj256Eld21rocsparse_complex_numIdES2_S2_EEvlT0_NS_24const_host_device_scalarIT4_EEPKS3_PKT1_PKT2_PT3_PS3_PS5_21rocsparse_index_base_b.has_indirect_call, 0
	.section	.AMDGPU.csdata,"",@progbits
; Kernel info:
; codeLenInByte = 3024
; TotalNumSgprs: 38
; NumVgprs: 46
; ScratchSize: 0
; MemoryBound: 1
; FloatMode: 240
; IeeeMode: 1
; LDSByteSize: 6144 bytes/workgroup (compile time only)
; SGPRBlocks: 0
; VGPRBlocks: 2
; NumSGPRsForWavesPerEU: 38
; NumVGPRsForWavesPerEU: 46
; NamedBarCnt: 0
; Occupancy: 16
; WaveLimiterHint : 1
; COMPUTE_PGM_RSRC2:SCRATCH_EN: 0
; COMPUTE_PGM_RSRC2:USER_SGPR: 2
; COMPUTE_PGM_RSRC2:TRAP_HANDLER: 0
; COMPUTE_PGM_RSRC2:TGID_X_EN: 1
; COMPUTE_PGM_RSRC2:TGID_Y_EN: 0
; COMPUTE_PGM_RSRC2:TGID_Z_EN: 0
; COMPUTE_PGM_RSRC2:TIDIG_COMP_CNT: 0
	.section	.text._ZN9rocsparseL23coomvn_aos_atomic_loopsILj256ELj1EifdddEEvlNS_24const_host_device_scalarIT5_EEPKT1_PKT2_PKT3_PT4_21rocsparse_index_base_b,"axG",@progbits,_ZN9rocsparseL23coomvn_aos_atomic_loopsILj256ELj1EifdddEEvlNS_24const_host_device_scalarIT5_EEPKT1_PKT2_PKT3_PT4_21rocsparse_index_base_b,comdat
	.globl	_ZN9rocsparseL23coomvn_aos_atomic_loopsILj256ELj1EifdddEEvlNS_24const_host_device_scalarIT5_EEPKT1_PKT2_PKT3_PT4_21rocsparse_index_base_b ; -- Begin function _ZN9rocsparseL23coomvn_aos_atomic_loopsILj256ELj1EifdddEEvlNS_24const_host_device_scalarIT5_EEPKT1_PKT2_PKT3_PT4_21rocsparse_index_base_b
	.p2align	8
	.type	_ZN9rocsparseL23coomvn_aos_atomic_loopsILj256ELj1EifdddEEvlNS_24const_host_device_scalarIT5_EEPKT1_PKT2_PKT3_PT4_21rocsparse_index_base_b,@function
_ZN9rocsparseL23coomvn_aos_atomic_loopsILj256ELj1EifdddEEvlNS_24const_host_device_scalarIT5_EEPKT1_PKT2_PKT3_PT4_21rocsparse_index_base_b: ; @_ZN9rocsparseL23coomvn_aos_atomic_loopsILj256ELj1EifdddEEvlNS_24const_host_device_scalarIT5_EEPKT1_PKT2_PKT3_PT4_21rocsparse_index_base_b
; %bb.0:
	s_clause 0x1
	s_load_b64 s[2:3], s[0:1], 0x30
	s_load_b128 s[4:7], s[0:1], 0x0
	s_wait_kmcnt 0x0
	s_bitcmp1_b32 s3, 0
	v_mov_b64_e32 v[2:3], s[6:7]
	s_cselect_b32 s3, -1, 0
	s_delay_alu instid0(SALU_CYCLE_1)
	s_and_b32 vcc_lo, exec_lo, s3
	s_cbranch_vccnz .LBB70_2
; %bb.1:
	v_mov_b32_e32 v1, 0
	flat_load_b64 v[2:3], v1, s[6:7]
.LBB70_2:
	s_mov_b32 s3, exec_lo
	s_wait_loadcnt_dscnt 0x0
	s_delay_alu instid0(VALU_DEP_1)
	v_cmpx_neq_f64_e32 0, v[2:3]
	s_cbranch_execz .LBB70_42
; %bb.3:
	s_bfe_u32 s3, ttmp6, 0x4000c
	s_and_b32 s6, ttmp6, 15
	s_add_co_i32 s3, s3, 1
	s_getreg_b32 s7, hwreg(HW_REG_IB_STS2, 6, 4)
	s_mul_i32 s3, ttmp9, s3
	v_mov_b64_e32 v[4:5], 0
	s_add_co_i32 s6, s6, s3
	s_cmp_eq_u32 s7, 0
	v_dual_mov_b32 v7, 0 :: v_dual_mov_b32 v1, -1
	s_cselect_b32 s3, ttmp9, s6
	s_delay_alu instid0(SALU_CYCLE_1) | instskip(SKIP_1) | instid1(VALU_DEP_1)
	v_lshl_or_b32 v6, s3, 8, v0
	s_mov_b32 s3, exec_lo
	v_cmpx_gt_i64_e64 s[4:5], v[6:7]
	s_cbranch_execz .LBB70_5
; %bb.4:
	s_load_b128 s[4:7], s[0:1], 0x10
	s_wait_kmcnt 0x0
	v_lshl_add_u64 v[4:5], v[6:7], 3, s[4:5]
	s_load_b64 s[4:5], s[0:1], 0x20
	global_load_b64 v[8:9], v[4:5], off th:TH_LOAD_NT
	s_wait_xcnt 0x0
	v_lshl_add_u64 v[4:5], v[6:7], 2, s[6:7]
	global_load_b32 v1, v[4:5], off th:TH_LOAD_NT
	s_wait_loadcnt 0x1
	s_wait_xcnt 0x0
	v_subrev_nc_u32_e32 v4, s2, v9
	s_wait_kmcnt 0x0
	global_load_b64 v[4:5], v4, s[4:5] scale_offset
	s_wait_loadcnt 0x1
	v_cvt_f64_f32_e32 v[6:7], v1
	v_subrev_nc_u32_e32 v1, s2, v8
	s_wait_loadcnt 0x0
	s_delay_alu instid0(VALU_DEP_2)
	v_mul_f64_e32 v[4:5], v[4:5], v[6:7]
.LBB70_5:
	s_or_b32 exec_lo, exec_lo, s3
	v_dual_lshlrev_b32 v8, 2, v0 :: v_dual_lshlrev_b32 v7, 3, v0
	s_mov_b32 s2, exec_lo
	ds_store_b32 v8, v1 offset:2048
	ds_store_b64 v7, v[4:5]
	v_or_b32_e32 v6, 0x800, v8
	s_wait_dscnt 0x0
	s_barrier_signal -1
	s_barrier_wait -1
	v_cmpx_ne_u32_e32 0, v0
	s_cbranch_execz .LBB70_9
; %bb.6:
	v_add_nc_u32_e32 v8, -4, v6
	s_mov_b32 s3, exec_lo
	ds_load_b32 v8, v8
	s_wait_dscnt 0x0
	v_cmpx_eq_u32_e64 v1, v8
	s_cbranch_execz .LBB70_8
; %bb.7:
	v_add_nc_u32_e32 v8, -8, v7
	ds_load_b64 v[8:9], v8
	s_wait_dscnt 0x0
	v_add_f64_e32 v[4:5], v[4:5], v[8:9]
.LBB70_8:
	s_or_b32 exec_lo, exec_lo, s3
.LBB70_9:
	s_delay_alu instid0(SALU_CYCLE_1) | instskip(NEXT) | instid1(SALU_CYCLE_1)
	s_or_b32 exec_lo, exec_lo, s2
	s_mov_b32 s2, exec_lo
	s_barrier_signal -1
	s_barrier_wait -1
	ds_store_b64 v7, v[4:5]
	s_wait_dscnt 0x0
	s_barrier_signal -1
	s_barrier_wait -1
	v_cmpx_lt_u32_e32 1, v0
	s_cbranch_execz .LBB70_13
; %bb.10:
	v_add_nc_u32_e32 v8, -8, v6
	s_mov_b32 s3, exec_lo
	ds_load_b32 v8, v8
	s_wait_dscnt 0x0
	v_cmpx_eq_u32_e64 v1, v8
	s_cbranch_execz .LBB70_12
; %bb.11:
	v_add_nc_u32_e32 v8, -16, v7
	ds_load_b64 v[8:9], v8
	s_wait_dscnt 0x0
	v_add_f64_e32 v[4:5], v[4:5], v[8:9]
.LBB70_12:
	s_or_b32 exec_lo, exec_lo, s3
.LBB70_13:
	s_delay_alu instid0(SALU_CYCLE_1) | instskip(NEXT) | instid1(SALU_CYCLE_1)
	s_or_b32 exec_lo, exec_lo, s2
	s_mov_b32 s2, exec_lo
	s_barrier_signal -1
	s_barrier_wait -1
	ds_store_b64 v7, v[4:5]
	s_wait_dscnt 0x0
	s_barrier_signal -1
	s_barrier_wait -1
	v_cmpx_lt_u32_e32 3, v0
	s_cbranch_execz .LBB70_17
; %bb.14:
	v_add_nc_u32_e32 v8, -16, v6
	s_mov_b32 s3, exec_lo
	ds_load_b32 v8, v8
	s_wait_dscnt 0x0
	v_cmpx_eq_u32_e64 v1, v8
	s_cbranch_execz .LBB70_16
; %bb.15:
	v_subrev_nc_u32_e32 v8, 32, v7
	ds_load_b64 v[8:9], v8
	s_wait_dscnt 0x0
	v_add_f64_e32 v[4:5], v[4:5], v[8:9]
.LBB70_16:
	s_or_b32 exec_lo, exec_lo, s3
.LBB70_17:
	s_delay_alu instid0(SALU_CYCLE_1) | instskip(NEXT) | instid1(SALU_CYCLE_1)
	s_or_b32 exec_lo, exec_lo, s2
	s_mov_b32 s2, exec_lo
	s_barrier_signal -1
	s_barrier_wait -1
	ds_store_b64 v7, v[4:5]
	s_wait_dscnt 0x0
	s_barrier_signal -1
	s_barrier_wait -1
	v_cmpx_lt_u32_e32 7, v0
	s_cbranch_execz .LBB70_21
; %bb.18:
	v_subrev_nc_u32_e32 v8, 32, v6
	s_mov_b32 s3, exec_lo
	ds_load_b32 v8, v8
	s_wait_dscnt 0x0
	v_cmpx_eq_u32_e64 v1, v8
	s_cbranch_execz .LBB70_20
; %bb.19:
	v_subrev_nc_u32_e32 v8, 64, v7
	ds_load_b64 v[8:9], v8
	s_wait_dscnt 0x0
	v_add_f64_e32 v[4:5], v[4:5], v[8:9]
.LBB70_20:
	s_or_b32 exec_lo, exec_lo, s3
.LBB70_21:
	s_delay_alu instid0(SALU_CYCLE_1) | instskip(NEXT) | instid1(SALU_CYCLE_1)
	s_or_b32 exec_lo, exec_lo, s2
	s_mov_b32 s2, exec_lo
	s_barrier_signal -1
	s_barrier_wait -1
	ds_store_b64 v7, v[4:5]
	s_wait_dscnt 0x0
	s_barrier_signal -1
	s_barrier_wait -1
	v_cmpx_lt_u32_e32 15, v0
	s_cbranch_execz .LBB70_25
; %bb.22:
	v_subrev_nc_u32_e32 v8, 64, v6
	s_mov_b32 s3, exec_lo
	ds_load_b32 v8, v8
	s_wait_dscnt 0x0
	v_cmpx_eq_u32_e64 v1, v8
	s_cbranch_execz .LBB70_24
; %bb.23:
	v_add_nc_u32_e32 v8, 0xffffff80, v7
	ds_load_b64 v[8:9], v8
	s_wait_dscnt 0x0
	v_add_f64_e32 v[4:5], v[4:5], v[8:9]
.LBB70_24:
	s_or_b32 exec_lo, exec_lo, s3
.LBB70_25:
	s_delay_alu instid0(SALU_CYCLE_1) | instskip(NEXT) | instid1(SALU_CYCLE_1)
	s_or_b32 exec_lo, exec_lo, s2
	s_mov_b32 s2, exec_lo
	s_barrier_signal -1
	s_barrier_wait -1
	ds_store_b64 v7, v[4:5]
	s_wait_dscnt 0x0
	s_barrier_signal -1
	s_barrier_wait -1
	v_cmpx_lt_u32_e32 31, v0
	s_cbranch_execz .LBB70_29
; %bb.26:
	v_add_nc_u32_e32 v8, 0xffffff80, v6
	s_mov_b32 s3, exec_lo
	ds_load_b32 v8, v8
	s_wait_dscnt 0x0
	v_cmpx_eq_u32_e64 v1, v8
	s_cbranch_execz .LBB70_28
; %bb.27:
	v_add_nc_u32_e32 v8, 0xffffff00, v7
	ds_load_b64 v[8:9], v8
	s_wait_dscnt 0x0
	v_add_f64_e32 v[4:5], v[4:5], v[8:9]
.LBB70_28:
	s_or_b32 exec_lo, exec_lo, s3
.LBB70_29:
	s_delay_alu instid0(SALU_CYCLE_1) | instskip(NEXT) | instid1(SALU_CYCLE_1)
	s_or_b32 exec_lo, exec_lo, s2
	s_mov_b32 s2, exec_lo
	s_barrier_signal -1
	s_barrier_wait -1
	ds_store_b64 v7, v[4:5]
	s_wait_dscnt 0x0
	s_barrier_signal -1
	s_barrier_wait -1
	v_cmpx_lt_u32_e32 63, v0
	s_cbranch_execz .LBB70_33
; %bb.30:
	v_add_nc_u32_e32 v8, 0xffffff00, v6
	s_mov_b32 s3, exec_lo
	ds_load_b32 v8, v8
	s_wait_dscnt 0x0
	v_cmpx_eq_u32_e64 v1, v8
	s_cbranch_execz .LBB70_32
; %bb.31:
	v_add_nc_u32_e32 v8, 0xfffffe00, v7
	ds_load_b64 v[8:9], v8
	s_wait_dscnt 0x0
	v_add_f64_e32 v[4:5], v[4:5], v[8:9]
.LBB70_32:
	s_or_b32 exec_lo, exec_lo, s3
.LBB70_33:
	s_delay_alu instid0(SALU_CYCLE_1)
	s_or_b32 exec_lo, exec_lo, s2
	s_load_b64 s[2:3], s[0:1], 0x28
	s_wait_xcnt 0x0
	s_mov_b32 s0, exec_lo
	s_barrier_signal -1
	s_barrier_wait -1
	ds_store_b64 v7, v[4:5]
	s_wait_dscnt 0x0
	s_barrier_signal -1
	s_barrier_wait -1
	v_cmpx_lt_u32_e32 0x7f, v0
	s_cbranch_execz .LBB70_37
; %bb.34:
	v_add_nc_u32_e32 v8, 0xfffffe00, v6
	s_mov_b32 s1, exec_lo
	ds_load_b32 v8, v8
	s_wait_dscnt 0x0
	v_cmpx_eq_u32_e64 v1, v8
	s_cbranch_execz .LBB70_36
; %bb.35:
	v_add_nc_u32_e32 v8, 0xfffffc00, v7
	ds_load_b64 v[8:9], v8
	s_wait_dscnt 0x0
	v_add_f64_e32 v[4:5], v[4:5], v[8:9]
.LBB70_36:
	s_or_b32 exec_lo, exec_lo, s1
.LBB70_37:
	s_delay_alu instid0(SALU_CYCLE_1) | instskip(NEXT) | instid1(SALU_CYCLE_1)
	s_or_b32 exec_lo, exec_lo, s0
	s_mov_b32 s1, exec_lo
	s_barrier_signal -1
	s_barrier_wait -1
	ds_store_b64 v7, v[4:5]
	s_wait_dscnt 0x0
	s_barrier_signal -1
	s_barrier_wait -1
	v_cmpx_gt_u32_e32 0xff, v0
	s_cbranch_execz .LBB70_40
; %bb.38:
	ds_load_b32 v6, v6 offset:4
	v_cmp_lt_i32_e64 s0, -1, v1
	s_wait_dscnt 0x0
	v_cmp_ne_u32_e32 vcc_lo, v1, v6
	s_and_b32 s0, s0, vcc_lo
	s_delay_alu instid0(SALU_CYCLE_1)
	s_and_b32 exec_lo, exec_lo, s0
	s_cbranch_execz .LBB70_40
; %bb.39:
	v_mul_f64_e32 v[6:7], v[2:3], v[4:5]
	s_wait_kmcnt 0x0
	global_atomic_add_f64 v1, v[6:7], s[2:3] scale_offset scope:SCOPE_DEV
.LBB70_40:
	s_wait_xcnt 0x0
	s_or_b32 exec_lo, exec_lo, s1
	v_cmp_eq_u32_e32 vcc_lo, 0xff, v0
	v_cmp_lt_i32_e64 s0, -1, v1
	s_and_b32 s0, vcc_lo, s0
	s_delay_alu instid0(SALU_CYCLE_1)
	s_and_b32 exec_lo, exec_lo, s0
	s_cbranch_execz .LBB70_42
; %bb.41:
	v_mul_f64_e32 v[2:3], v[2:3], v[4:5]
	s_wait_kmcnt 0x0
	global_atomic_add_f64 v1, v[2:3], s[2:3] scale_offset scope:SCOPE_DEV
.LBB70_42:
	s_endpgm
	.section	.rodata,"a",@progbits
	.p2align	6, 0x0
	.amdhsa_kernel _ZN9rocsparseL23coomvn_aos_atomic_loopsILj256ELj1EifdddEEvlNS_24const_host_device_scalarIT5_EEPKT1_PKT2_PKT3_PT4_21rocsparse_index_base_b
		.amdhsa_group_segment_fixed_size 3072
		.amdhsa_private_segment_fixed_size 0
		.amdhsa_kernarg_size 56
		.amdhsa_user_sgpr_count 2
		.amdhsa_user_sgpr_dispatch_ptr 0
		.amdhsa_user_sgpr_queue_ptr 0
		.amdhsa_user_sgpr_kernarg_segment_ptr 1
		.amdhsa_user_sgpr_dispatch_id 0
		.amdhsa_user_sgpr_kernarg_preload_length 0
		.amdhsa_user_sgpr_kernarg_preload_offset 0
		.amdhsa_user_sgpr_private_segment_size 0
		.amdhsa_wavefront_size32 1
		.amdhsa_uses_dynamic_stack 0
		.amdhsa_enable_private_segment 0
		.amdhsa_system_sgpr_workgroup_id_x 1
		.amdhsa_system_sgpr_workgroup_id_y 0
		.amdhsa_system_sgpr_workgroup_id_z 0
		.amdhsa_system_sgpr_workgroup_info 0
		.amdhsa_system_vgpr_workitem_id 0
		.amdhsa_next_free_vgpr 10
		.amdhsa_next_free_sgpr 8
		.amdhsa_named_barrier_count 0
		.amdhsa_reserve_vcc 1
		.amdhsa_float_round_mode_32 0
		.amdhsa_float_round_mode_16_64 0
		.amdhsa_float_denorm_mode_32 3
		.amdhsa_float_denorm_mode_16_64 3
		.amdhsa_fp16_overflow 0
		.amdhsa_memory_ordered 1
		.amdhsa_forward_progress 1
		.amdhsa_inst_pref_size 11
		.amdhsa_round_robin_scheduling 0
		.amdhsa_exception_fp_ieee_invalid_op 0
		.amdhsa_exception_fp_denorm_src 0
		.amdhsa_exception_fp_ieee_div_zero 0
		.amdhsa_exception_fp_ieee_overflow 0
		.amdhsa_exception_fp_ieee_underflow 0
		.amdhsa_exception_fp_ieee_inexact 0
		.amdhsa_exception_int_div_zero 0
	.end_amdhsa_kernel
	.section	.text._ZN9rocsparseL23coomvn_aos_atomic_loopsILj256ELj1EifdddEEvlNS_24const_host_device_scalarIT5_EEPKT1_PKT2_PKT3_PT4_21rocsparse_index_base_b,"axG",@progbits,_ZN9rocsparseL23coomvn_aos_atomic_loopsILj256ELj1EifdddEEvlNS_24const_host_device_scalarIT5_EEPKT1_PKT2_PKT3_PT4_21rocsparse_index_base_b,comdat
.Lfunc_end70:
	.size	_ZN9rocsparseL23coomvn_aos_atomic_loopsILj256ELj1EifdddEEvlNS_24const_host_device_scalarIT5_EEPKT1_PKT2_PKT3_PT4_21rocsparse_index_base_b, .Lfunc_end70-_ZN9rocsparseL23coomvn_aos_atomic_loopsILj256ELj1EifdddEEvlNS_24const_host_device_scalarIT5_EEPKT1_PKT2_PKT3_PT4_21rocsparse_index_base_b
                                        ; -- End function
	.set _ZN9rocsparseL23coomvn_aos_atomic_loopsILj256ELj1EifdddEEvlNS_24const_host_device_scalarIT5_EEPKT1_PKT2_PKT3_PT4_21rocsparse_index_base_b.num_vgpr, 10
	.set _ZN9rocsparseL23coomvn_aos_atomic_loopsILj256ELj1EifdddEEvlNS_24const_host_device_scalarIT5_EEPKT1_PKT2_PKT3_PT4_21rocsparse_index_base_b.num_agpr, 0
	.set _ZN9rocsparseL23coomvn_aos_atomic_loopsILj256ELj1EifdddEEvlNS_24const_host_device_scalarIT5_EEPKT1_PKT2_PKT3_PT4_21rocsparse_index_base_b.numbered_sgpr, 8
	.set _ZN9rocsparseL23coomvn_aos_atomic_loopsILj256ELj1EifdddEEvlNS_24const_host_device_scalarIT5_EEPKT1_PKT2_PKT3_PT4_21rocsparse_index_base_b.num_named_barrier, 0
	.set _ZN9rocsparseL23coomvn_aos_atomic_loopsILj256ELj1EifdddEEvlNS_24const_host_device_scalarIT5_EEPKT1_PKT2_PKT3_PT4_21rocsparse_index_base_b.private_seg_size, 0
	.set _ZN9rocsparseL23coomvn_aos_atomic_loopsILj256ELj1EifdddEEvlNS_24const_host_device_scalarIT5_EEPKT1_PKT2_PKT3_PT4_21rocsparse_index_base_b.uses_vcc, 1
	.set _ZN9rocsparseL23coomvn_aos_atomic_loopsILj256ELj1EifdddEEvlNS_24const_host_device_scalarIT5_EEPKT1_PKT2_PKT3_PT4_21rocsparse_index_base_b.uses_flat_scratch, 0
	.set _ZN9rocsparseL23coomvn_aos_atomic_loopsILj256ELj1EifdddEEvlNS_24const_host_device_scalarIT5_EEPKT1_PKT2_PKT3_PT4_21rocsparse_index_base_b.has_dyn_sized_stack, 0
	.set _ZN9rocsparseL23coomvn_aos_atomic_loopsILj256ELj1EifdddEEvlNS_24const_host_device_scalarIT5_EEPKT1_PKT2_PKT3_PT4_21rocsparse_index_base_b.has_recursion, 0
	.set _ZN9rocsparseL23coomvn_aos_atomic_loopsILj256ELj1EifdddEEvlNS_24const_host_device_scalarIT5_EEPKT1_PKT2_PKT3_PT4_21rocsparse_index_base_b.has_indirect_call, 0
	.section	.AMDGPU.csdata,"",@progbits
; Kernel info:
; codeLenInByte = 1348
; TotalNumSgprs: 10
; NumVgprs: 10
; ScratchSize: 0
; MemoryBound: 0
; FloatMode: 240
; IeeeMode: 1
; LDSByteSize: 3072 bytes/workgroup (compile time only)
; SGPRBlocks: 0
; VGPRBlocks: 0
; NumSGPRsForWavesPerEU: 10
; NumVGPRsForWavesPerEU: 10
; NamedBarCnt: 0
; Occupancy: 16
; WaveLimiterHint : 1
; COMPUTE_PGM_RSRC2:SCRATCH_EN: 0
; COMPUTE_PGM_RSRC2:USER_SGPR: 2
; COMPUTE_PGM_RSRC2:TRAP_HANDLER: 0
; COMPUTE_PGM_RSRC2:TGID_X_EN: 1
; COMPUTE_PGM_RSRC2:TGID_Y_EN: 0
; COMPUTE_PGM_RSRC2:TGID_Z_EN: 0
; COMPUTE_PGM_RSRC2:TIDIG_COMP_CNT: 0
	.section	.text._ZN9rocsparseL17coomvt_aos_kernelILj1024EifdddEEv20rocsparse_operation_lNS_24const_host_device_scalarIT4_EEPKT0_PKT1_PKT2_PT3_21rocsparse_index_base_b,"axG",@progbits,_ZN9rocsparseL17coomvt_aos_kernelILj1024EifdddEEv20rocsparse_operation_lNS_24const_host_device_scalarIT4_EEPKT0_PKT1_PKT2_PT3_21rocsparse_index_base_b,comdat
	.globl	_ZN9rocsparseL17coomvt_aos_kernelILj1024EifdddEEv20rocsparse_operation_lNS_24const_host_device_scalarIT4_EEPKT0_PKT1_PKT2_PT3_21rocsparse_index_base_b ; -- Begin function _ZN9rocsparseL17coomvt_aos_kernelILj1024EifdddEEv20rocsparse_operation_lNS_24const_host_device_scalarIT4_EEPKT0_PKT1_PKT2_PT3_21rocsparse_index_base_b
	.p2align	8
	.type	_ZN9rocsparseL17coomvt_aos_kernelILj1024EifdddEEv20rocsparse_operation_lNS_24const_host_device_scalarIT4_EEPKT0_PKT1_PKT2_PT3_21rocsparse_index_base_b,@function
_ZN9rocsparseL17coomvt_aos_kernelILj1024EifdddEEv20rocsparse_operation_lNS_24const_host_device_scalarIT4_EEPKT0_PKT1_PKT2_PT3_21rocsparse_index_base_b: ; @_ZN9rocsparseL17coomvt_aos_kernelILj1024EifdddEEv20rocsparse_operation_lNS_24const_host_device_scalarIT4_EEPKT0_PKT1_PKT2_PT3_21rocsparse_index_base_b
; %bb.0:
	s_clause 0x1
	s_load_b64 s[2:3], s[0:1], 0x38
	s_load_b128 s[4:7], s[0:1], 0x8
	s_wait_kmcnt 0x0
	s_bitcmp1_b32 s3, 0
	v_mov_b64_e32 v[2:3], s[6:7]
	s_cselect_b32 s3, -1, 0
	s_delay_alu instid0(SALU_CYCLE_1)
	s_and_b32 vcc_lo, exec_lo, s3
	s_cbranch_vccnz .LBB71_2
; %bb.1:
	v_mov_b32_e32 v1, 0
	flat_load_b64 v[2:3], v1, s[6:7]
.LBB71_2:
	s_mov_b32 s3, exec_lo
	s_wait_loadcnt_dscnt 0x0
	s_delay_alu instid0(VALU_DEP_1)
	v_cmpx_neq_f64_e32 0, v[2:3]
	s_cbranch_execz .LBB71_5
; %bb.3:
	s_load_b32 s3, s[0:1], 0x4c
	s_bfe_u32 s6, ttmp6, 0x4000c
	s_and_b32 s7, ttmp6, 15
	s_add_co_i32 s6, s6, 1
	s_getreg_b32 s8, hwreg(HW_REG_IB_STS2, 6, 4)
	s_mul_i32 s6, ttmp9, s6
	v_mov_b32_e32 v1, 0
	s_add_co_i32 s7, s7, s6
	s_wait_kmcnt 0x0
	s_and_b32 s3, s3, 0xffff
	s_cmp_eq_u32 s8, 0
	s_cselect_b32 s6, ttmp9, s7
	s_delay_alu instid0(SALU_CYCLE_1) | instskip(NEXT) | instid1(VALU_DEP_1)
	v_mad_u32 v0, s6, s3, v0
	v_cmp_gt_i64_e32 vcc_lo, s[4:5], v[0:1]
	s_and_b32 exec_lo, exec_lo, vcc_lo
	s_cbranch_execz .LBB71_5
; %bb.4:
	s_load_b256 s[4:11], s[0:1], 0x18
	s_wait_kmcnt 0x0
	v_lshl_add_u64 v[4:5], v[0:1], 3, s[4:5]
	v_lshl_add_u64 v[0:1], v[0:1], 2, s[6:7]
	global_load_b64 v[4:5], v[4:5], off
	global_load_b32 v6, v[0:1], off
	s_wait_loadcnt 0x1
	s_wait_xcnt 0x0
	v_subrev_nc_u32_e32 v0, s2, v4
	s_wait_loadcnt 0x0
	v_cvt_f64_f32_e32 v[6:7], v6
	global_load_b64 v[0:1], v0, s[8:9] scale_offset
	v_mul_f64_e32 v[2:3], v[2:3], v[6:7]
	s_wait_loadcnt 0x0
	s_delay_alu instid0(VALU_DEP_1)
	v_mul_f64_e32 v[0:1], v[0:1], v[2:3]
	v_subrev_nc_u32_e32 v2, s2, v5
	global_atomic_add_f64 v2, v[0:1], s[10:11] scale_offset scope:SCOPE_DEV
.LBB71_5:
	s_endpgm
	.section	.rodata,"a",@progbits
	.p2align	6, 0x0
	.amdhsa_kernel _ZN9rocsparseL17coomvt_aos_kernelILj1024EifdddEEv20rocsparse_operation_lNS_24const_host_device_scalarIT4_EEPKT0_PKT1_PKT2_PT3_21rocsparse_index_base_b
		.amdhsa_group_segment_fixed_size 0
		.amdhsa_private_segment_fixed_size 0
		.amdhsa_kernarg_size 320
		.amdhsa_user_sgpr_count 2
		.amdhsa_user_sgpr_dispatch_ptr 0
		.amdhsa_user_sgpr_queue_ptr 0
		.amdhsa_user_sgpr_kernarg_segment_ptr 1
		.amdhsa_user_sgpr_dispatch_id 0
		.amdhsa_user_sgpr_kernarg_preload_length 0
		.amdhsa_user_sgpr_kernarg_preload_offset 0
		.amdhsa_user_sgpr_private_segment_size 0
		.amdhsa_wavefront_size32 1
		.amdhsa_uses_dynamic_stack 0
		.amdhsa_enable_private_segment 0
		.amdhsa_system_sgpr_workgroup_id_x 1
		.amdhsa_system_sgpr_workgroup_id_y 0
		.amdhsa_system_sgpr_workgroup_id_z 0
		.amdhsa_system_sgpr_workgroup_info 0
		.amdhsa_system_vgpr_workitem_id 0
		.amdhsa_next_free_vgpr 8
		.amdhsa_next_free_sgpr 12
		.amdhsa_named_barrier_count 0
		.amdhsa_reserve_vcc 1
		.amdhsa_float_round_mode_32 0
		.amdhsa_float_round_mode_16_64 0
		.amdhsa_float_denorm_mode_32 3
		.amdhsa_float_denorm_mode_16_64 3
		.amdhsa_fp16_overflow 0
		.amdhsa_memory_ordered 1
		.amdhsa_forward_progress 1
		.amdhsa_inst_pref_size 3
		.amdhsa_round_robin_scheduling 0
		.amdhsa_exception_fp_ieee_invalid_op 0
		.amdhsa_exception_fp_denorm_src 0
		.amdhsa_exception_fp_ieee_div_zero 0
		.amdhsa_exception_fp_ieee_overflow 0
		.amdhsa_exception_fp_ieee_underflow 0
		.amdhsa_exception_fp_ieee_inexact 0
		.amdhsa_exception_int_div_zero 0
	.end_amdhsa_kernel
	.section	.text._ZN9rocsparseL17coomvt_aos_kernelILj1024EifdddEEv20rocsparse_operation_lNS_24const_host_device_scalarIT4_EEPKT0_PKT1_PKT2_PT3_21rocsparse_index_base_b,"axG",@progbits,_ZN9rocsparseL17coomvt_aos_kernelILj1024EifdddEEv20rocsparse_operation_lNS_24const_host_device_scalarIT4_EEPKT0_PKT1_PKT2_PT3_21rocsparse_index_base_b,comdat
.Lfunc_end71:
	.size	_ZN9rocsparseL17coomvt_aos_kernelILj1024EifdddEEv20rocsparse_operation_lNS_24const_host_device_scalarIT4_EEPKT0_PKT1_PKT2_PT3_21rocsparse_index_base_b, .Lfunc_end71-_ZN9rocsparseL17coomvt_aos_kernelILj1024EifdddEEv20rocsparse_operation_lNS_24const_host_device_scalarIT4_EEPKT0_PKT1_PKT2_PT3_21rocsparse_index_base_b
                                        ; -- End function
	.set _ZN9rocsparseL17coomvt_aos_kernelILj1024EifdddEEv20rocsparse_operation_lNS_24const_host_device_scalarIT4_EEPKT0_PKT1_PKT2_PT3_21rocsparse_index_base_b.num_vgpr, 8
	.set _ZN9rocsparseL17coomvt_aos_kernelILj1024EifdddEEv20rocsparse_operation_lNS_24const_host_device_scalarIT4_EEPKT0_PKT1_PKT2_PT3_21rocsparse_index_base_b.num_agpr, 0
	.set _ZN9rocsparseL17coomvt_aos_kernelILj1024EifdddEEv20rocsparse_operation_lNS_24const_host_device_scalarIT4_EEPKT0_PKT1_PKT2_PT3_21rocsparse_index_base_b.numbered_sgpr, 12
	.set _ZN9rocsparseL17coomvt_aos_kernelILj1024EifdddEEv20rocsparse_operation_lNS_24const_host_device_scalarIT4_EEPKT0_PKT1_PKT2_PT3_21rocsparse_index_base_b.num_named_barrier, 0
	.set _ZN9rocsparseL17coomvt_aos_kernelILj1024EifdddEEv20rocsparse_operation_lNS_24const_host_device_scalarIT4_EEPKT0_PKT1_PKT2_PT3_21rocsparse_index_base_b.private_seg_size, 0
	.set _ZN9rocsparseL17coomvt_aos_kernelILj1024EifdddEEv20rocsparse_operation_lNS_24const_host_device_scalarIT4_EEPKT0_PKT1_PKT2_PT3_21rocsparse_index_base_b.uses_vcc, 1
	.set _ZN9rocsparseL17coomvt_aos_kernelILj1024EifdddEEv20rocsparse_operation_lNS_24const_host_device_scalarIT4_EEPKT0_PKT1_PKT2_PT3_21rocsparse_index_base_b.uses_flat_scratch, 0
	.set _ZN9rocsparseL17coomvt_aos_kernelILj1024EifdddEEv20rocsparse_operation_lNS_24const_host_device_scalarIT4_EEPKT0_PKT1_PKT2_PT3_21rocsparse_index_base_b.has_dyn_sized_stack, 0
	.set _ZN9rocsparseL17coomvt_aos_kernelILj1024EifdddEEv20rocsparse_operation_lNS_24const_host_device_scalarIT4_EEPKT0_PKT1_PKT2_PT3_21rocsparse_index_base_b.has_recursion, 0
	.set _ZN9rocsparseL17coomvt_aos_kernelILj1024EifdddEEv20rocsparse_operation_lNS_24const_host_device_scalarIT4_EEPKT0_PKT1_PKT2_PT3_21rocsparse_index_base_b.has_indirect_call, 0
	.section	.AMDGPU.csdata,"",@progbits
; Kernel info:
; codeLenInByte = 288
; TotalNumSgprs: 14
; NumVgprs: 8
; ScratchSize: 0
; MemoryBound: 0
; FloatMode: 240
; IeeeMode: 1
; LDSByteSize: 0 bytes/workgroup (compile time only)
; SGPRBlocks: 0
; VGPRBlocks: 0
; NumSGPRsForWavesPerEU: 14
; NumVGPRsForWavesPerEU: 8
; NamedBarCnt: 0
; Occupancy: 16
; WaveLimiterHint : 1
; COMPUTE_PGM_RSRC2:SCRATCH_EN: 0
; COMPUTE_PGM_RSRC2:USER_SGPR: 2
; COMPUTE_PGM_RSRC2:TRAP_HANDLER: 0
; COMPUTE_PGM_RSRC2:TGID_X_EN: 1
; COMPUTE_PGM_RSRC2:TGID_Y_EN: 0
; COMPUTE_PGM_RSRC2:TGID_Z_EN: 0
; COMPUTE_PGM_RSRC2:TIDIG_COMP_CNT: 0
	.section	.text._ZN9rocsparseL26coomvn_aos_segmented_loopsILj256EifdddEEvlT0_NS_24const_host_device_scalarIT4_EEPKS1_PKT1_PKT2_PT3_PS1_PS3_21rocsparse_index_base_b,"axG",@progbits,_ZN9rocsparseL26coomvn_aos_segmented_loopsILj256EifdddEEvlT0_NS_24const_host_device_scalarIT4_EEPKS1_PKT1_PKT2_PT3_PS1_PS3_21rocsparse_index_base_b,comdat
	.globl	_ZN9rocsparseL26coomvn_aos_segmented_loopsILj256EifdddEEvlT0_NS_24const_host_device_scalarIT4_EEPKS1_PKT1_PKT2_PT3_PS1_PS3_21rocsparse_index_base_b ; -- Begin function _ZN9rocsparseL26coomvn_aos_segmented_loopsILj256EifdddEEvlT0_NS_24const_host_device_scalarIT4_EEPKS1_PKT1_PKT2_PT3_PS1_PS3_21rocsparse_index_base_b
	.p2align	8
	.type	_ZN9rocsparseL26coomvn_aos_segmented_loopsILj256EifdddEEvlT0_NS_24const_host_device_scalarIT4_EEPKS1_PKT1_PKT2_PT3_PS1_PS3_21rocsparse_index_base_b,@function
_ZN9rocsparseL26coomvn_aos_segmented_loopsILj256EifdddEEvlT0_NS_24const_host_device_scalarIT4_EEPKS1_PKT1_PKT2_PT3_PS1_PS3_21rocsparse_index_base_b: ; @_ZN9rocsparseL26coomvn_aos_segmented_loopsILj256EifdddEEvlT0_NS_24const_host_device_scalarIT4_EEPKS1_PKT1_PKT2_PT3_PS1_PS3_21rocsparse_index_base_b
; %bb.0:
	s_clause 0x1
	s_load_b64 s[20:21], s[0:1], 0x48
	s_load_b64 s[2:3], s[0:1], 0x10
	s_wait_kmcnt 0x0
	s_bitcmp1_b32 s21, 0
	v_mov_b64_e32 v[2:3], s[2:3]
	s_cselect_b32 s4, -1, 0
	s_delay_alu instid0(SALU_CYCLE_1)
	s_and_b32 vcc_lo, exec_lo, s4
	s_cbranch_vccnz .LBB72_2
; %bb.1:
	v_mov_b32_e32 v1, 0
	flat_load_b64 v[2:3], v1, s[2:3]
.LBB72_2:
	s_wait_xcnt 0x0
	s_mov_b32 s2, exec_lo
	s_wait_loadcnt_dscnt 0x0
	v_cmpx_neq_f64_e32 0, v[2:3]
	s_cbranch_execz .LBB72_89
; %bb.3:
	s_clause 0x1
	s_load_b96 s[16:18], s[0:1], 0x0
	s_load_b128 s[4:7], s[0:1], 0x18
	s_bfe_u32 s2, ttmp6, 0x4000c
	s_load_b64 s[24:25], s[0:1], 0x28
	s_add_co_i32 s2, s2, 1
	s_and_b32 s3, ttmp6, 15
	s_mul_i32 s2, ttmp9, s2
	s_getreg_b32 s8, hwreg(HW_REG_IB_STS2, 6, 4)
	s_add_co_i32 s3, s3, s2
	s_cmp_eq_u32 s8, 0
	v_dual_mov_b32 v7, 0 :: v_dual_mov_b32 v13, -1
	s_cselect_b32 s19, ttmp9, s3
	v_mov_b64_e32 v[4:5], 0
	s_wait_kmcnt 0x0
	s_mul_i32 s2, s19, s18
	s_delay_alu instid0(SALU_CYCLE_1) | instskip(SKIP_1) | instid1(VALU_DEP_1)
	v_lshl_or_b32 v6, s2, 8, v0
	s_mov_b32 s2, exec_lo
	v_lshl_add_u64 v[8:9], v[6:7], 3, s[4:5]
	v_lshl_add_u64 v[10:11], v[6:7], 2, s[6:7]
	v_cmpx_gt_i64_e64 s[16:17], v[6:7]
	s_cbranch_execz .LBB72_5
; %bb.4:
	global_load_b64 v[12:13], v[8:9], off th:TH_LOAD_NT
	global_load_b32 v1, v[10:11], off th:TH_LOAD_NT
	s_ashr_i32 s21, s20, 31
	s_delay_alu instid0(SALU_CYCLE_1)
	s_lshl_b64 s[4:5], s[20:21], 3
	s_wait_loadcnt 0x1
	v_dual_mov_b32 v4, v13 :: v_dual_ashrrev_i32 v5, 31, v13
	s_wait_loadcnt 0x0
	v_cvt_f64_f32_e32 v[14:15], v1
	v_subrev_nc_u32_e32 v13, s20, v12
	s_delay_alu instid0(VALU_DEP_3) | instskip(NEXT) | instid1(VALU_DEP_1)
	v_lshl_add_u64 v[4:5], v[4:5], 3, s[24:25]
	v_sub_nc_u64_e64 v[4:5], v[4:5], s[4:5]
	global_load_b64 v[4:5], v[4:5], off
	s_wait_loadcnt 0x0
	v_mul_f64_e32 v[4:5], v[4:5], v[14:15]
.LBB72_5:
	s_or_b32 exec_lo, exec_lo, s2
	v_dual_lshlrev_b32 v14, 2, v0 :: v_dual_lshlrev_b32 v1, 3, v0
	v_cmp_eq_u32_e64 s2, 0, v0
	v_cmp_ne_u32_e64 s3, 0, v0
	ds_store_b32 v14, v13 offset:2048
	ds_store_b64 v1, v[4:5]
	v_or_b32_e32 v12, 0x800, v14
	s_wait_dscnt 0x0
	s_barrier_signal -1
	s_barrier_wait -1
	s_delay_alu instid0(VALU_DEP_1)
	v_add_nc_u32_e32 v14, -4, v12
	s_and_saveexec_b32 s4, s3
	s_cbranch_execz .LBB72_9
; %bb.6:
	ds_load_b32 v15, v14
	s_mov_b32 s5, exec_lo
	s_wait_dscnt 0x0
	v_cmpx_eq_u32_e64 v13, v15
	s_cbranch_execz .LBB72_8
; %bb.7:
	v_add_nc_u32_e32 v15, -8, v1
	ds_load_b64 v[16:17], v15
	s_wait_dscnt 0x0
	v_add_f64_e32 v[4:5], v[4:5], v[16:17]
.LBB72_8:
	s_or_b32 exec_lo, exec_lo, s5
.LBB72_9:
	s_delay_alu instid0(SALU_CYCLE_1)
	s_or_b32 exec_lo, exec_lo, s4
	v_cmp_lt_u32_e64 s4, 1, v0
	v_add_nc_u32_e32 v15, -8, v12
	s_barrier_signal -1
	s_barrier_wait -1
	ds_store_b64 v1, v[4:5]
	s_wait_dscnt 0x0
	s_barrier_signal -1
	s_barrier_wait -1
	s_and_saveexec_b32 s5, s4
	s_cbranch_execz .LBB72_13
; %bb.10:
	ds_load_b32 v16, v15
	s_mov_b32 s6, exec_lo
	s_wait_dscnt 0x0
	v_cmpx_eq_u32_e64 v13, v16
	s_cbranch_execz .LBB72_12
; %bb.11:
	v_add_nc_u32_e32 v16, -16, v1
	ds_load_b64 v[16:17], v16
	s_wait_dscnt 0x0
	v_add_f64_e32 v[4:5], v[4:5], v[16:17]
.LBB72_12:
	s_or_b32 exec_lo, exec_lo, s6
.LBB72_13:
	s_delay_alu instid0(SALU_CYCLE_1)
	s_or_b32 exec_lo, exec_lo, s5
	v_cmp_lt_u32_e64 s5, 3, v0
	v_add_nc_u32_e32 v16, -16, v12
	s_barrier_signal -1
	s_barrier_wait -1
	ds_store_b64 v1, v[4:5]
	s_wait_dscnt 0x0
	s_barrier_signal -1
	s_barrier_wait -1
	s_and_saveexec_b32 s6, s5
	s_cbranch_execz .LBB72_17
; %bb.14:
	ds_load_b32 v17, v16
	s_mov_b32 s7, exec_lo
	s_wait_dscnt 0x0
	v_cmpx_eq_u32_e64 v13, v17
	s_cbranch_execz .LBB72_16
; %bb.15:
	v_subrev_nc_u32_e32 v17, 32, v1
	ds_load_b64 v[18:19], v17
	s_wait_dscnt 0x0
	v_add_f64_e32 v[4:5], v[4:5], v[18:19]
.LBB72_16:
	s_or_b32 exec_lo, exec_lo, s7
.LBB72_17:
	s_delay_alu instid0(SALU_CYCLE_1)
	s_or_b32 exec_lo, exec_lo, s6
	v_cmp_lt_u32_e64 s6, 7, v0
	v_subrev_nc_u32_e32 v17, 32, v12
	s_barrier_signal -1
	s_barrier_wait -1
	ds_store_b64 v1, v[4:5]
	s_wait_dscnt 0x0
	s_barrier_signal -1
	s_barrier_wait -1
	s_and_saveexec_b32 s7, s6
	s_cbranch_execz .LBB72_21
; %bb.18:
	ds_load_b32 v18, v17
	s_mov_b32 s8, exec_lo
	s_wait_dscnt 0x0
	v_cmpx_eq_u32_e64 v13, v18
	s_cbranch_execz .LBB72_20
; %bb.19:
	v_subrev_nc_u32_e32 v18, 64, v1
	ds_load_b64 v[18:19], v18
	s_wait_dscnt 0x0
	v_add_f64_e32 v[4:5], v[4:5], v[18:19]
.LBB72_20:
	s_or_b32 exec_lo, exec_lo, s8
.LBB72_21:
	s_delay_alu instid0(SALU_CYCLE_1)
	s_or_b32 exec_lo, exec_lo, s7
	v_cmp_lt_u32_e64 s7, 15, v0
	v_subrev_nc_u32_e32 v18, 64, v12
	s_barrier_signal -1
	s_barrier_wait -1
	ds_store_b64 v1, v[4:5]
	s_wait_dscnt 0x0
	s_barrier_signal -1
	s_barrier_wait -1
	s_and_saveexec_b32 s8, s7
	s_cbranch_execz .LBB72_25
; %bb.22:
	ds_load_b32 v19, v18
	s_mov_b32 s9, exec_lo
	s_wait_dscnt 0x0
	v_cmpx_eq_u32_e64 v13, v19
	s_cbranch_execz .LBB72_24
; %bb.23:
	v_add_nc_u32_e32 v19, 0xffffff80, v1
	ds_load_b64 v[20:21], v19
	s_wait_dscnt 0x0
	v_add_f64_e32 v[4:5], v[4:5], v[20:21]
.LBB72_24:
	s_or_b32 exec_lo, exec_lo, s9
.LBB72_25:
	s_delay_alu instid0(SALU_CYCLE_1)
	s_or_b32 exec_lo, exec_lo, s8
	v_cmp_lt_u32_e64 s8, 31, v0
	v_add_nc_u32_e32 v19, 0xffffff80, v12
	s_barrier_signal -1
	s_barrier_wait -1
	ds_store_b64 v1, v[4:5]
	s_wait_dscnt 0x0
	s_barrier_signal -1
	s_barrier_wait -1
	s_and_saveexec_b32 s9, s8
	s_cbranch_execz .LBB72_29
; %bb.26:
	ds_load_b32 v20, v19
	s_mov_b32 s10, exec_lo
	s_wait_dscnt 0x0
	v_cmpx_eq_u32_e64 v13, v20
	s_cbranch_execz .LBB72_28
; %bb.27:
	v_add_nc_u32_e32 v20, 0xffffff00, v1
	ds_load_b64 v[20:21], v20
	s_wait_dscnt 0x0
	v_add_f64_e32 v[4:5], v[4:5], v[20:21]
.LBB72_28:
	s_or_b32 exec_lo, exec_lo, s10
.LBB72_29:
	s_delay_alu instid0(SALU_CYCLE_1)
	s_or_b32 exec_lo, exec_lo, s9
	v_cmp_lt_u32_e64 s9, 63, v0
	v_add_nc_u32_e32 v20, 0xffffff00, v12
	s_barrier_signal -1
	s_barrier_wait -1
	ds_store_b64 v1, v[4:5]
	s_wait_dscnt 0x0
	s_barrier_signal -1
	s_barrier_wait -1
	s_and_saveexec_b32 s10, s9
	s_cbranch_execz .LBB72_33
; %bb.30:
	ds_load_b32 v21, v20
	s_mov_b32 s11, exec_lo
	s_wait_dscnt 0x0
	v_cmpx_eq_u32_e64 v13, v21
	s_cbranch_execz .LBB72_32
; %bb.31:
	v_add_nc_u32_e32 v21, 0xfffffe00, v1
	ds_load_b64 v[22:23], v21
	s_wait_dscnt 0x0
	v_add_f64_e32 v[4:5], v[4:5], v[22:23]
.LBB72_32:
	s_or_b32 exec_lo, exec_lo, s11
.LBB72_33:
	s_delay_alu instid0(SALU_CYCLE_1)
	s_or_b32 exec_lo, exec_lo, s10
	s_load_b64 s[22:23], s[0:1], 0x30
	v_cmp_lt_u32_e64 s10, 0x7f, v0
	v_add_nc_u32_e32 v21, 0xfffffe00, v12
	s_barrier_signal -1
	s_barrier_wait -1
	ds_store_b64 v1, v[4:5]
	s_wait_dscnt 0x0
	s_barrier_signal -1
	s_barrier_wait -1
	s_and_saveexec_b32 s11, s10
	s_cbranch_execz .LBB72_37
; %bb.34:
	ds_load_b32 v22, v21
	s_mov_b32 s12, exec_lo
	s_wait_dscnt 0x0
	v_cmpx_eq_u32_e64 v13, v22
	s_cbranch_execz .LBB72_36
; %bb.35:
	v_add_nc_u32_e32 v22, 0xfffffc00, v1
	ds_load_b64 v[22:23], v22
	s_wait_dscnt 0x0
	v_add_f64_e32 v[4:5], v[4:5], v[22:23]
.LBB72_36:
	s_or_b32 exec_lo, exec_lo, s12
.LBB72_37:
	s_delay_alu instid0(SALU_CYCLE_1)
	s_or_b32 exec_lo, exec_lo, s11
	v_cmp_gt_u32_e64 s11, 0xff, v0
	s_barrier_signal -1
	s_barrier_wait -1
	ds_store_b64 v1, v[4:5]
	s_wait_dscnt 0x0
	s_barrier_signal -1
	s_barrier_wait -1
	s_and_saveexec_b32 s13, s11
	s_cbranch_execz .LBB72_40
; %bb.38:
	ds_load_b32 v22, v12 offset:4
	v_cmp_lt_i32_e64 s12, -1, v13
	s_wait_dscnt 0x0
	v_cmp_ne_u32_e32 vcc_lo, v13, v22
	s_and_b32 s12, s12, vcc_lo
	s_delay_alu instid0(SALU_CYCLE_1)
	s_and_b32 exec_lo, exec_lo, s12
	s_cbranch_execz .LBB72_40
; %bb.39:
	s_wait_kmcnt 0x0
	global_load_b64 v[22:23], v13, s[22:23] scale_offset
	s_wait_loadcnt 0x0
	v_fmac_f64_e32 v[22:23], v[2:3], v[4:5]
	global_store_b64 v13, v[22:23], s[22:23] scale_offset
.LBB72_40:
	s_wait_xcnt 0x0
	s_or_b32 exec_lo, exec_lo, s13
	s_load_b128 s[12:15], s[0:1], 0x38
	s_cmp_lt_i32 s18, 2
	s_cbranch_scc1 .LBB72_87
; %bb.41:
	v_add_nc_u64_e32 v[10:11], 0x400, v[10:11]
	v_add_nc_u64_e32 v[8:9], 0x800, v[8:9]
	;; [unrolled: 1-line block ×3, first 2 shown]
	s_ashr_i32 s21, s20, 31
	v_dual_add_nc_u32 v22, -8, v1 :: v_dual_add_nc_u32 v23, -16, v1
	v_subrev_nc_u32_e32 v24, 32, v1
	v_subrev_nc_u32_e32 v25, 64, v1
	v_add_nc_u32_e32 v26, 0xffffff80, v1
	v_dual_mov_b32 v30, 0 :: v_dual_add_nc_u32 v27, 0xffffff00, v1
	v_add_nc_u32_e32 v28, 0xfffffe00, v1
	v_add_nc_u32_e32 v29, 0xfffffc00, v1
	s_wait_xcnt 0x0
	s_lshl_b64 s[0:1], s[20:21], 3
	s_delay_alu instid0(SALU_CYCLE_1)
	s_sub_nc_u64 s[24:25], s[24:25], s[0:1]
	s_add_co_i32 s1, s18, -1
	s_branch .LBB72_43
.LBB72_42:                              ;   in Loop: Header=BB72_43 Depth=1
	s_wait_xcnt 0x0
	s_or_b32 exec_lo, exec_lo, s18
	v_add_nc_u64_e32 v[10:11], 0x400, v[10:11]
	v_add_nc_u64_e32 v[8:9], 0x800, v[8:9]
	;; [unrolled: 1-line block ×3, first 2 shown]
	s_add_co_i32 s1, s1, -1
	s_delay_alu instid0(SALU_CYCLE_1)
	s_cmp_eq_u32 s1, 0
	s_cbranch_scc1 .LBB72_87
.LBB72_43:                              ; =>This Inner Loop Header: Depth=1
	v_mov_b64_e32 v[4:5], 0
	v_mov_b32_e32 v13, -1
	s_mov_b32 s0, exec_lo
	v_cmpx_gt_i64_e64 s[16:17], v[6:7]
	s_cbranch_execz .LBB72_45
; %bb.44:                               ;   in Loop: Header=BB72_43 Depth=1
	global_load_b64 v[32:33], v[8:9], off th:TH_LOAD_NT
	global_load_b32 v13, v[10:11], off th:TH_LOAD_NT
	s_wait_loadcnt 0x1
	global_load_b64 v[4:5], v33, s[24:25] scale_offset
	s_wait_loadcnt 0x1
	v_cvt_f64_f32_e32 v[34:35], v13
	v_subrev_nc_u32_e32 v13, s20, v32
	s_wait_loadcnt 0x0
	s_delay_alu instid0(VALU_DEP_2)
	v_mul_f64_e32 v[4:5], v[4:5], v[34:35]
.LBB72_45:                              ;   in Loop: Header=BB72_43 Depth=1
	s_wait_xcnt 0x0
	s_or_b32 exec_lo, exec_lo, s0
	s_and_saveexec_b32 s0, s2
	s_cbranch_execz .LBB72_52
; %bb.46:                               ;   in Loop: Header=BB72_43 Depth=1
	ds_load_b32 v31, v30 offset:3068
	s_mov_b32 s18, exec_lo
	s_wait_dscnt 0x0
	v_cmpx_ne_u32_e64 v13, v31
	s_xor_b32 s18, exec_lo, s18
	s_cbranch_execz .LBB72_49
; %bb.47:                               ;   in Loop: Header=BB72_43 Depth=1
	v_cmp_gt_i32_e32 vcc_lo, 0, v31
	s_cbranch_vccnz .LBB72_49
; %bb.48:                               ;   in Loop: Header=BB72_43 Depth=1
	s_wait_kmcnt 0x0
	global_load_b64 v[32:33], v31, s[22:23] scale_offset
	ds_load_b64 v[34:35], v30 offset:2040
	s_wait_loadcnt_dscnt 0x0
	v_fmac_f64_e32 v[32:33], v[2:3], v[34:35]
	global_store_b64 v31, v[32:33], s[22:23] scale_offset
.LBB72_49:                              ;   in Loop: Header=BB72_43 Depth=1
	s_wait_xcnt 0x0
	s_and_not1_saveexec_b32 s18, s18
	s_cbranch_execz .LBB72_51
; %bb.50:                               ;   in Loop: Header=BB72_43 Depth=1
	ds_load_b64 v[32:33], v30 offset:2040
	s_wait_dscnt 0x0
	v_add_f64_e32 v[4:5], v[4:5], v[32:33]
.LBB72_51:                              ;   in Loop: Header=BB72_43 Depth=1
	s_or_b32 exec_lo, exec_lo, s18
.LBB72_52:                              ;   in Loop: Header=BB72_43 Depth=1
	s_delay_alu instid0(SALU_CYCLE_1)
	s_or_b32 exec_lo, exec_lo, s0
	s_wait_storecnt 0x0
	s_barrier_signal -1
	s_barrier_wait -1
	ds_store_b32 v12, v13
	ds_store_b64 v1, v[4:5]
	s_wait_dscnt 0x0
	s_barrier_signal -1
	s_barrier_wait -1
	s_and_saveexec_b32 s0, s3
	s_cbranch_execz .LBB72_56
; %bb.53:                               ;   in Loop: Header=BB72_43 Depth=1
	ds_load_b32 v31, v14
	s_mov_b32 s18, exec_lo
	s_wait_dscnt 0x0
	v_cmpx_eq_u32_e64 v13, v31
	s_cbranch_execz .LBB72_55
; %bb.54:                               ;   in Loop: Header=BB72_43 Depth=1
	ds_load_b64 v[32:33], v22
	s_wait_dscnt 0x0
	v_add_f64_e32 v[4:5], v[4:5], v[32:33]
.LBB72_55:                              ;   in Loop: Header=BB72_43 Depth=1
	s_or_b32 exec_lo, exec_lo, s18
.LBB72_56:                              ;   in Loop: Header=BB72_43 Depth=1
	s_delay_alu instid0(SALU_CYCLE_1)
	s_or_b32 exec_lo, exec_lo, s0
	s_barrier_signal -1
	s_barrier_wait -1
	ds_store_b64 v1, v[4:5]
	s_wait_dscnt 0x0
	s_barrier_signal -1
	s_barrier_wait -1
	s_and_saveexec_b32 s0, s4
	s_cbranch_execz .LBB72_60
; %bb.57:                               ;   in Loop: Header=BB72_43 Depth=1
	ds_load_b32 v31, v15
	s_mov_b32 s18, exec_lo
	s_wait_dscnt 0x0
	v_cmpx_eq_u32_e64 v13, v31
	s_cbranch_execz .LBB72_59
; %bb.58:                               ;   in Loop: Header=BB72_43 Depth=1
	ds_load_b64 v[32:33], v23
	s_wait_dscnt 0x0
	v_add_f64_e32 v[4:5], v[4:5], v[32:33]
.LBB72_59:                              ;   in Loop: Header=BB72_43 Depth=1
	s_or_b32 exec_lo, exec_lo, s18
.LBB72_60:                              ;   in Loop: Header=BB72_43 Depth=1
	s_delay_alu instid0(SALU_CYCLE_1)
	s_or_b32 exec_lo, exec_lo, s0
	s_barrier_signal -1
	s_barrier_wait -1
	ds_store_b64 v1, v[4:5]
	s_wait_dscnt 0x0
	s_barrier_signal -1
	s_barrier_wait -1
	s_and_saveexec_b32 s0, s5
	s_cbranch_execz .LBB72_64
; %bb.61:                               ;   in Loop: Header=BB72_43 Depth=1
	ds_load_b32 v31, v16
	s_mov_b32 s18, exec_lo
	s_wait_dscnt 0x0
	v_cmpx_eq_u32_e64 v13, v31
	s_cbranch_execz .LBB72_63
; %bb.62:                               ;   in Loop: Header=BB72_43 Depth=1
	ds_load_b64 v[32:33], v24
	s_wait_dscnt 0x0
	v_add_f64_e32 v[4:5], v[4:5], v[32:33]
.LBB72_63:                              ;   in Loop: Header=BB72_43 Depth=1
	s_or_b32 exec_lo, exec_lo, s18
.LBB72_64:                              ;   in Loop: Header=BB72_43 Depth=1
	s_delay_alu instid0(SALU_CYCLE_1)
	s_or_b32 exec_lo, exec_lo, s0
	s_barrier_signal -1
	s_barrier_wait -1
	ds_store_b64 v1, v[4:5]
	s_wait_dscnt 0x0
	s_barrier_signal -1
	s_barrier_wait -1
	s_and_saveexec_b32 s0, s6
	s_cbranch_execz .LBB72_68
; %bb.65:                               ;   in Loop: Header=BB72_43 Depth=1
	ds_load_b32 v31, v17
	s_mov_b32 s18, exec_lo
	s_wait_dscnt 0x0
	v_cmpx_eq_u32_e64 v13, v31
	s_cbranch_execz .LBB72_67
; %bb.66:                               ;   in Loop: Header=BB72_43 Depth=1
	ds_load_b64 v[32:33], v25
	s_wait_dscnt 0x0
	v_add_f64_e32 v[4:5], v[4:5], v[32:33]
.LBB72_67:                              ;   in Loop: Header=BB72_43 Depth=1
	s_or_b32 exec_lo, exec_lo, s18
.LBB72_68:                              ;   in Loop: Header=BB72_43 Depth=1
	s_delay_alu instid0(SALU_CYCLE_1)
	s_or_b32 exec_lo, exec_lo, s0
	s_barrier_signal -1
	s_barrier_wait -1
	ds_store_b64 v1, v[4:5]
	s_wait_dscnt 0x0
	s_barrier_signal -1
	s_barrier_wait -1
	s_and_saveexec_b32 s0, s7
	s_cbranch_execz .LBB72_72
; %bb.69:                               ;   in Loop: Header=BB72_43 Depth=1
	ds_load_b32 v31, v18
	s_mov_b32 s18, exec_lo
	s_wait_dscnt 0x0
	v_cmpx_eq_u32_e64 v13, v31
	s_cbranch_execz .LBB72_71
; %bb.70:                               ;   in Loop: Header=BB72_43 Depth=1
	ds_load_b64 v[32:33], v26
	s_wait_dscnt 0x0
	v_add_f64_e32 v[4:5], v[4:5], v[32:33]
.LBB72_71:                              ;   in Loop: Header=BB72_43 Depth=1
	s_or_b32 exec_lo, exec_lo, s18
.LBB72_72:                              ;   in Loop: Header=BB72_43 Depth=1
	s_delay_alu instid0(SALU_CYCLE_1)
	s_or_b32 exec_lo, exec_lo, s0
	s_barrier_signal -1
	s_barrier_wait -1
	ds_store_b64 v1, v[4:5]
	s_wait_dscnt 0x0
	s_barrier_signal -1
	s_barrier_wait -1
	s_and_saveexec_b32 s0, s8
	s_cbranch_execz .LBB72_76
; %bb.73:                               ;   in Loop: Header=BB72_43 Depth=1
	ds_load_b32 v31, v19
	s_mov_b32 s18, exec_lo
	s_wait_dscnt 0x0
	v_cmpx_eq_u32_e64 v13, v31
	s_cbranch_execz .LBB72_75
; %bb.74:                               ;   in Loop: Header=BB72_43 Depth=1
	ds_load_b64 v[32:33], v27
	s_wait_dscnt 0x0
	v_add_f64_e32 v[4:5], v[4:5], v[32:33]
.LBB72_75:                              ;   in Loop: Header=BB72_43 Depth=1
	s_or_b32 exec_lo, exec_lo, s18
.LBB72_76:                              ;   in Loop: Header=BB72_43 Depth=1
	s_delay_alu instid0(SALU_CYCLE_1)
	s_or_b32 exec_lo, exec_lo, s0
	s_barrier_signal -1
	s_barrier_wait -1
	ds_store_b64 v1, v[4:5]
	s_wait_dscnt 0x0
	s_barrier_signal -1
	s_barrier_wait -1
	s_and_saveexec_b32 s0, s9
	s_cbranch_execz .LBB72_80
; %bb.77:                               ;   in Loop: Header=BB72_43 Depth=1
	ds_load_b32 v31, v20
	s_mov_b32 s18, exec_lo
	s_wait_dscnt 0x0
	v_cmpx_eq_u32_e64 v13, v31
	s_cbranch_execz .LBB72_79
; %bb.78:                               ;   in Loop: Header=BB72_43 Depth=1
	ds_load_b64 v[32:33], v28
	s_wait_dscnt 0x0
	v_add_f64_e32 v[4:5], v[4:5], v[32:33]
.LBB72_79:                              ;   in Loop: Header=BB72_43 Depth=1
	s_or_b32 exec_lo, exec_lo, s18
.LBB72_80:                              ;   in Loop: Header=BB72_43 Depth=1
	s_delay_alu instid0(SALU_CYCLE_1)
	s_or_b32 exec_lo, exec_lo, s0
	s_barrier_signal -1
	s_barrier_wait -1
	ds_store_b64 v1, v[4:5]
	s_wait_dscnt 0x0
	s_barrier_signal -1
	s_barrier_wait -1
	s_and_saveexec_b32 s0, s10
	s_cbranch_execz .LBB72_84
; %bb.81:                               ;   in Loop: Header=BB72_43 Depth=1
	ds_load_b32 v31, v21
	s_mov_b32 s18, exec_lo
	s_wait_dscnt 0x0
	v_cmpx_eq_u32_e64 v13, v31
	s_cbranch_execz .LBB72_83
; %bb.82:                               ;   in Loop: Header=BB72_43 Depth=1
	ds_load_b64 v[32:33], v29
	s_wait_dscnt 0x0
	v_add_f64_e32 v[4:5], v[4:5], v[32:33]
.LBB72_83:                              ;   in Loop: Header=BB72_43 Depth=1
	s_or_b32 exec_lo, exec_lo, s18
.LBB72_84:                              ;   in Loop: Header=BB72_43 Depth=1
	s_delay_alu instid0(SALU_CYCLE_1)
	s_or_b32 exec_lo, exec_lo, s0
	s_barrier_signal -1
	s_barrier_wait -1
	ds_store_b64 v1, v[4:5]
	s_wait_dscnt 0x0
	s_barrier_signal -1
	s_barrier_wait -1
	s_and_saveexec_b32 s18, s11
	s_cbranch_execz .LBB72_42
; %bb.85:                               ;   in Loop: Header=BB72_43 Depth=1
	ds_load_b32 v31, v12 offset:4
	v_cmp_lt_i32_e64 s0, -1, v13
	s_wait_dscnt 0x0
	v_cmp_ne_u32_e32 vcc_lo, v13, v31
	s_and_b32 s0, s0, vcc_lo
	s_delay_alu instid0(SALU_CYCLE_1)
	s_and_b32 exec_lo, exec_lo, s0
	s_cbranch_execz .LBB72_42
; %bb.86:                               ;   in Loop: Header=BB72_43 Depth=1
	s_wait_kmcnt 0x0
	global_load_b64 v[32:33], v13, s[22:23] scale_offset
	s_wait_loadcnt 0x0
	v_fmac_f64_e32 v[32:33], v[2:3], v[4:5]
	global_store_b64 v13, v[32:33], s[22:23] scale_offset
	s_branch .LBB72_42
.LBB72_87:
	v_cmp_eq_u32_e32 vcc_lo, 0xff, v0
	s_and_b32 exec_lo, exec_lo, vcc_lo
	s_cbranch_execz .LBB72_89
; %bb.88:
	v_dual_mul_f64 v[0:1], v[2:3], v[4:5] :: v_dual_mov_b32 v2, s19
	s_wait_kmcnt 0x0
	s_clause 0x1
	global_store_b32 v2, v13, s[12:13] scale_offset th:TH_STORE_NT
	global_store_b64 v2, v[0:1], s[14:15] scale_offset th:TH_STORE_NT
.LBB72_89:
	s_endpgm
	.section	.rodata,"a",@progbits
	.p2align	6, 0x0
	.amdhsa_kernel _ZN9rocsparseL26coomvn_aos_segmented_loopsILj256EifdddEEvlT0_NS_24const_host_device_scalarIT4_EEPKS1_PKT1_PKT2_PT3_PS1_PS3_21rocsparse_index_base_b
		.amdhsa_group_segment_fixed_size 3072
		.amdhsa_private_segment_fixed_size 0
		.amdhsa_kernarg_size 80
		.amdhsa_user_sgpr_count 2
		.amdhsa_user_sgpr_dispatch_ptr 0
		.amdhsa_user_sgpr_queue_ptr 0
		.amdhsa_user_sgpr_kernarg_segment_ptr 1
		.amdhsa_user_sgpr_dispatch_id 0
		.amdhsa_user_sgpr_kernarg_preload_length 0
		.amdhsa_user_sgpr_kernarg_preload_offset 0
		.amdhsa_user_sgpr_private_segment_size 0
		.amdhsa_wavefront_size32 1
		.amdhsa_uses_dynamic_stack 0
		.amdhsa_enable_private_segment 0
		.amdhsa_system_sgpr_workgroup_id_x 1
		.amdhsa_system_sgpr_workgroup_id_y 0
		.amdhsa_system_sgpr_workgroup_id_z 0
		.amdhsa_system_sgpr_workgroup_info 0
		.amdhsa_system_vgpr_workitem_id 0
		.amdhsa_next_free_vgpr 36
		.amdhsa_next_free_sgpr 26
		.amdhsa_named_barrier_count 0
		.amdhsa_reserve_vcc 1
		.amdhsa_float_round_mode_32 0
		.amdhsa_float_round_mode_16_64 0
		.amdhsa_float_denorm_mode_32 3
		.amdhsa_float_denorm_mode_16_64 3
		.amdhsa_fp16_overflow 0
		.amdhsa_memory_ordered 1
		.amdhsa_forward_progress 1
		.amdhsa_inst_pref_size 22
		.amdhsa_round_robin_scheduling 0
		.amdhsa_exception_fp_ieee_invalid_op 0
		.amdhsa_exception_fp_denorm_src 0
		.amdhsa_exception_fp_ieee_div_zero 0
		.amdhsa_exception_fp_ieee_overflow 0
		.amdhsa_exception_fp_ieee_underflow 0
		.amdhsa_exception_fp_ieee_inexact 0
		.amdhsa_exception_int_div_zero 0
	.end_amdhsa_kernel
	.section	.text._ZN9rocsparseL26coomvn_aos_segmented_loopsILj256EifdddEEvlT0_NS_24const_host_device_scalarIT4_EEPKS1_PKT1_PKT2_PT3_PS1_PS3_21rocsparse_index_base_b,"axG",@progbits,_ZN9rocsparseL26coomvn_aos_segmented_loopsILj256EifdddEEvlT0_NS_24const_host_device_scalarIT4_EEPKS1_PKT1_PKT2_PT3_PS1_PS3_21rocsparse_index_base_b,comdat
.Lfunc_end72:
	.size	_ZN9rocsparseL26coomvn_aos_segmented_loopsILj256EifdddEEvlT0_NS_24const_host_device_scalarIT4_EEPKS1_PKT1_PKT2_PT3_PS1_PS3_21rocsparse_index_base_b, .Lfunc_end72-_ZN9rocsparseL26coomvn_aos_segmented_loopsILj256EifdddEEvlT0_NS_24const_host_device_scalarIT4_EEPKS1_PKT1_PKT2_PT3_PS1_PS3_21rocsparse_index_base_b
                                        ; -- End function
	.set _ZN9rocsparseL26coomvn_aos_segmented_loopsILj256EifdddEEvlT0_NS_24const_host_device_scalarIT4_EEPKS1_PKT1_PKT2_PT3_PS1_PS3_21rocsparse_index_base_b.num_vgpr, 36
	.set _ZN9rocsparseL26coomvn_aos_segmented_loopsILj256EifdddEEvlT0_NS_24const_host_device_scalarIT4_EEPKS1_PKT1_PKT2_PT3_PS1_PS3_21rocsparse_index_base_b.num_agpr, 0
	.set _ZN9rocsparseL26coomvn_aos_segmented_loopsILj256EifdddEEvlT0_NS_24const_host_device_scalarIT4_EEPKS1_PKT1_PKT2_PT3_PS1_PS3_21rocsparse_index_base_b.numbered_sgpr, 26
	.set _ZN9rocsparseL26coomvn_aos_segmented_loopsILj256EifdddEEvlT0_NS_24const_host_device_scalarIT4_EEPKS1_PKT1_PKT2_PT3_PS1_PS3_21rocsparse_index_base_b.num_named_barrier, 0
	.set _ZN9rocsparseL26coomvn_aos_segmented_loopsILj256EifdddEEvlT0_NS_24const_host_device_scalarIT4_EEPKS1_PKT1_PKT2_PT3_PS1_PS3_21rocsparse_index_base_b.private_seg_size, 0
	.set _ZN9rocsparseL26coomvn_aos_segmented_loopsILj256EifdddEEvlT0_NS_24const_host_device_scalarIT4_EEPKS1_PKT1_PKT2_PT3_PS1_PS3_21rocsparse_index_base_b.uses_vcc, 1
	.set _ZN9rocsparseL26coomvn_aos_segmented_loopsILj256EifdddEEvlT0_NS_24const_host_device_scalarIT4_EEPKS1_PKT1_PKT2_PT3_PS1_PS3_21rocsparse_index_base_b.uses_flat_scratch, 0
	.set _ZN9rocsparseL26coomvn_aos_segmented_loopsILj256EifdddEEvlT0_NS_24const_host_device_scalarIT4_EEPKS1_PKT1_PKT2_PT3_PS1_PS3_21rocsparse_index_base_b.has_dyn_sized_stack, 0
	.set _ZN9rocsparseL26coomvn_aos_segmented_loopsILj256EifdddEEvlT0_NS_24const_host_device_scalarIT4_EEPKS1_PKT1_PKT2_PT3_PS1_PS3_21rocsparse_index_base_b.has_recursion, 0
	.set _ZN9rocsparseL26coomvn_aos_segmented_loopsILj256EifdddEEvlT0_NS_24const_host_device_scalarIT4_EEPKS1_PKT1_PKT2_PT3_PS1_PS3_21rocsparse_index_base_b.has_indirect_call, 0
	.section	.AMDGPU.csdata,"",@progbits
; Kernel info:
; codeLenInByte = 2716
; TotalNumSgprs: 28
; NumVgprs: 36
; ScratchSize: 0
; MemoryBound: 0
; FloatMode: 240
; IeeeMode: 1
; LDSByteSize: 3072 bytes/workgroup (compile time only)
; SGPRBlocks: 0
; VGPRBlocks: 2
; NumSGPRsForWavesPerEU: 28
; NumVGPRsForWavesPerEU: 36
; NamedBarCnt: 0
; Occupancy: 16
; WaveLimiterHint : 1
; COMPUTE_PGM_RSRC2:SCRATCH_EN: 0
; COMPUTE_PGM_RSRC2:USER_SGPR: 2
; COMPUTE_PGM_RSRC2:TRAP_HANDLER: 0
; COMPUTE_PGM_RSRC2:TGID_X_EN: 1
; COMPUTE_PGM_RSRC2:TGID_Y_EN: 0
; COMPUTE_PGM_RSRC2:TGID_Z_EN: 0
; COMPUTE_PGM_RSRC2:TIDIG_COMP_CNT: 0
	.section	.text._ZN9rocsparseL23coomvn_aos_atomic_loopsILj256ELj1ElfdddEEvlNS_24const_host_device_scalarIT5_EEPKT1_PKT2_PKT3_PT4_21rocsparse_index_base_b,"axG",@progbits,_ZN9rocsparseL23coomvn_aos_atomic_loopsILj256ELj1ElfdddEEvlNS_24const_host_device_scalarIT5_EEPKT1_PKT2_PKT3_PT4_21rocsparse_index_base_b,comdat
	.globl	_ZN9rocsparseL23coomvn_aos_atomic_loopsILj256ELj1ElfdddEEvlNS_24const_host_device_scalarIT5_EEPKT1_PKT2_PKT3_PT4_21rocsparse_index_base_b ; -- Begin function _ZN9rocsparseL23coomvn_aos_atomic_loopsILj256ELj1ElfdddEEvlNS_24const_host_device_scalarIT5_EEPKT1_PKT2_PKT3_PT4_21rocsparse_index_base_b
	.p2align	8
	.type	_ZN9rocsparseL23coomvn_aos_atomic_loopsILj256ELj1ElfdddEEvlNS_24const_host_device_scalarIT5_EEPKT1_PKT2_PKT3_PT4_21rocsparse_index_base_b,@function
_ZN9rocsparseL23coomvn_aos_atomic_loopsILj256ELj1ElfdddEEvlNS_24const_host_device_scalarIT5_EEPKT1_PKT2_PKT3_PT4_21rocsparse_index_base_b: ; @_ZN9rocsparseL23coomvn_aos_atomic_loopsILj256ELj1ElfdddEEvlNS_24const_host_device_scalarIT5_EEPKT1_PKT2_PKT3_PT4_21rocsparse_index_base_b
; %bb.0:
	s_clause 0x1
	s_load_b64 s[2:3], s[0:1], 0x30
	s_load_b128 s[4:7], s[0:1], 0x0
	s_wait_kmcnt 0x0
	s_bitcmp1_b32 s3, 0
	v_mov_b64_e32 v[2:3], s[6:7]
	s_cselect_b32 s3, -1, 0
	s_delay_alu instid0(SALU_CYCLE_1)
	s_and_b32 vcc_lo, exec_lo, s3
	s_cbranch_vccnz .LBB73_2
; %bb.1:
	v_mov_b32_e32 v1, 0
	flat_load_b64 v[2:3], v1, s[6:7]
.LBB73_2:
	s_mov_b32 s3, exec_lo
	s_wait_loadcnt_dscnt 0x0
	s_delay_alu instid0(VALU_DEP_1)
	v_cmpx_neq_f64_e32 0, v[2:3]
	s_cbranch_execz .LBB73_42
; %bb.3:
	s_bfe_u32 s3, ttmp6, 0x4000c
	s_and_b32 s6, ttmp6, 15
	s_add_co_i32 s3, s3, 1
	s_getreg_b32 s7, hwreg(HW_REG_IB_STS2, 6, 4)
	s_mul_i32 s3, ttmp9, s3
	v_mov_b32_e32 v9, 0
	s_add_co_i32 s6, s6, s3
	s_cmp_eq_u32 s7, 0
	v_mov_b64_e32 v[4:5], -1
	s_cselect_b32 s3, ttmp9, s6
	v_mov_b64_e32 v[6:7], 0
	v_lshl_or_b32 v8, s3, 8, v0
	s_mov_b32 s3, 0
	s_delay_alu instid0(VALU_DEP_1)
	v_cmp_gt_i64_e32 vcc_lo, s[4:5], v[8:9]
	s_and_saveexec_b32 s4, vcc_lo
	s_cbranch_execz .LBB73_5
; %bb.4:
	s_clause 0x1
	s_load_b128 s[8:11], s[0:1], 0x10
	s_load_b64 s[6:7], s[0:1], 0x20
	s_wait_kmcnt 0x0
	v_lshl_add_u64 v[4:5], v[8:9], 4, s[8:9]
	v_lshl_add_u64 v[8:9], v[8:9], 2, s[10:11]
	global_load_b128 v[4:7], v[4:5], off th:TH_LOAD_NT
	global_load_b32 v1, v[8:9], off th:TH_LOAD_NT
	s_wait_loadcnt 0x1
	v_sub_nc_u64_e64 v[6:7], v[6:7], s[2:3]
	s_wait_loadcnt 0x0
	v_cvt_f64_f32_e32 v[8:9], v1
	v_sub_nc_u64_e64 v[4:5], v[4:5], s[2:3]
	s_delay_alu instid0(VALU_DEP_3)
	v_lshl_add_u64 v[6:7], v[6:7], 3, s[6:7]
	global_load_b64 v[6:7], v[6:7], off
	s_wait_loadcnt 0x0
	v_mul_f64_e32 v[6:7], v[6:7], v[8:9]
.LBB73_5:
	s_or_b32 exec_lo, exec_lo, s4
	v_lshlrev_b32_e32 v1, 3, v0
	s_mov_b32 s2, exec_lo
	s_delay_alu instid0(VALU_DEP_1)
	v_or_b32_e32 v8, 0x800, v1
	ds_store_2addr_stride64_b64 v1, v[4:5], v[6:7] offset1:4
	s_wait_dscnt 0x0
	s_barrier_signal -1
	s_barrier_wait -1
	v_cmpx_ne_u32_e32 0, v0
	s_cbranch_execz .LBB73_9
; %bb.6:
	v_add_nc_u32_e32 v9, -8, v1
	s_mov_b32 s3, exec_lo
	ds_load_b64 v[10:11], v9
	s_wait_dscnt 0x0
	v_cmpx_eq_u64_e64 v[4:5], v[10:11]
	s_cbranch_execz .LBB73_8
; %bb.7:
	v_add_nc_u32_e32 v9, -8, v8
	ds_load_b64 v[10:11], v9
	s_wait_dscnt 0x0
	v_add_f64_e32 v[6:7], v[6:7], v[10:11]
.LBB73_8:
	s_or_b32 exec_lo, exec_lo, s3
.LBB73_9:
	s_delay_alu instid0(SALU_CYCLE_1) | instskip(NEXT) | instid1(SALU_CYCLE_1)
	s_or_b32 exec_lo, exec_lo, s2
	s_mov_b32 s2, exec_lo
	s_barrier_signal -1
	s_barrier_wait -1
	ds_store_b64 v8, v[6:7]
	s_wait_dscnt 0x0
	s_barrier_signal -1
	s_barrier_wait -1
	v_cmpx_lt_u32_e32 1, v0
	s_cbranch_execz .LBB73_13
; %bb.10:
	v_add_nc_u32_e32 v9, -16, v1
	s_mov_b32 s3, exec_lo
	ds_load_b64 v[10:11], v9
	s_wait_dscnt 0x0
	v_cmpx_eq_u64_e64 v[4:5], v[10:11]
	s_cbranch_execz .LBB73_12
; %bb.11:
	v_add_nc_u32_e32 v9, -16, v8
	ds_load_b64 v[10:11], v9
	s_wait_dscnt 0x0
	v_add_f64_e32 v[6:7], v[6:7], v[10:11]
.LBB73_12:
	s_or_b32 exec_lo, exec_lo, s3
.LBB73_13:
	s_delay_alu instid0(SALU_CYCLE_1) | instskip(NEXT) | instid1(SALU_CYCLE_1)
	s_or_b32 exec_lo, exec_lo, s2
	s_mov_b32 s2, exec_lo
	s_barrier_signal -1
	s_barrier_wait -1
	ds_store_b64 v8, v[6:7]
	s_wait_dscnt 0x0
	s_barrier_signal -1
	s_barrier_wait -1
	v_cmpx_lt_u32_e32 3, v0
	s_cbranch_execz .LBB73_17
; %bb.14:
	v_subrev_nc_u32_e32 v9, 32, v1
	s_mov_b32 s3, exec_lo
	ds_load_b64 v[10:11], v9
	s_wait_dscnt 0x0
	v_cmpx_eq_u64_e64 v[4:5], v[10:11]
	s_cbranch_execz .LBB73_16
; %bb.15:
	v_subrev_nc_u32_e32 v9, 32, v8
	ds_load_b64 v[10:11], v9
	s_wait_dscnt 0x0
	v_add_f64_e32 v[6:7], v[6:7], v[10:11]
.LBB73_16:
	s_or_b32 exec_lo, exec_lo, s3
.LBB73_17:
	s_delay_alu instid0(SALU_CYCLE_1) | instskip(NEXT) | instid1(SALU_CYCLE_1)
	s_or_b32 exec_lo, exec_lo, s2
	s_mov_b32 s2, exec_lo
	s_barrier_signal -1
	s_barrier_wait -1
	ds_store_b64 v8, v[6:7]
	s_wait_dscnt 0x0
	s_barrier_signal -1
	s_barrier_wait -1
	v_cmpx_lt_u32_e32 7, v0
	s_cbranch_execz .LBB73_21
; %bb.18:
	v_subrev_nc_u32_e32 v9, 64, v1
	s_mov_b32 s3, exec_lo
	ds_load_b64 v[10:11], v9
	s_wait_dscnt 0x0
	v_cmpx_eq_u64_e64 v[4:5], v[10:11]
	s_cbranch_execz .LBB73_20
; %bb.19:
	v_subrev_nc_u32_e32 v9, 64, v8
	ds_load_b64 v[10:11], v9
	s_wait_dscnt 0x0
	v_add_f64_e32 v[6:7], v[6:7], v[10:11]
.LBB73_20:
	s_or_b32 exec_lo, exec_lo, s3
.LBB73_21:
	s_delay_alu instid0(SALU_CYCLE_1) | instskip(NEXT) | instid1(SALU_CYCLE_1)
	s_or_b32 exec_lo, exec_lo, s2
	s_mov_b32 s2, exec_lo
	s_barrier_signal -1
	s_barrier_wait -1
	ds_store_b64 v8, v[6:7]
	s_wait_dscnt 0x0
	s_barrier_signal -1
	s_barrier_wait -1
	v_cmpx_lt_u32_e32 15, v0
	s_cbranch_execz .LBB73_25
; %bb.22:
	v_add_nc_u32_e32 v9, 0xffffff80, v1
	s_mov_b32 s3, exec_lo
	ds_load_b64 v[10:11], v9
	s_wait_dscnt 0x0
	v_cmpx_eq_u64_e64 v[4:5], v[10:11]
	s_cbranch_execz .LBB73_24
; %bb.23:
	v_add_nc_u32_e32 v9, 0xffffff80, v8
	ds_load_b64 v[10:11], v9
	s_wait_dscnt 0x0
	v_add_f64_e32 v[6:7], v[6:7], v[10:11]
.LBB73_24:
	s_or_b32 exec_lo, exec_lo, s3
.LBB73_25:
	s_delay_alu instid0(SALU_CYCLE_1) | instskip(NEXT) | instid1(SALU_CYCLE_1)
	s_or_b32 exec_lo, exec_lo, s2
	s_mov_b32 s2, exec_lo
	s_barrier_signal -1
	s_barrier_wait -1
	ds_store_b64 v8, v[6:7]
	s_wait_dscnt 0x0
	s_barrier_signal -1
	s_barrier_wait -1
	v_cmpx_lt_u32_e32 31, v0
	s_cbranch_execz .LBB73_29
; %bb.26:
	v_add_nc_u32_e32 v9, 0xffffff00, v1
	s_mov_b32 s3, exec_lo
	ds_load_b64 v[10:11], v9
	s_wait_dscnt 0x0
	v_cmpx_eq_u64_e64 v[4:5], v[10:11]
	s_cbranch_execz .LBB73_28
; %bb.27:
	v_add_nc_u32_e32 v9, 0xffffff00, v8
	ds_load_b64 v[10:11], v9
	s_wait_dscnt 0x0
	v_add_f64_e32 v[6:7], v[6:7], v[10:11]
.LBB73_28:
	s_or_b32 exec_lo, exec_lo, s3
.LBB73_29:
	;; [unrolled: 26-line block ×4, first 2 shown]
	s_delay_alu instid0(SALU_CYCLE_1)
	s_or_b32 exec_lo, exec_lo, s2
	s_load_b64 s[2:3], s[0:1], 0x28
	s_wait_xcnt 0x0
	s_mov_b32 s1, exec_lo
	s_barrier_signal -1
	s_barrier_wait -1
	ds_store_b64 v8, v[6:7]
	s_wait_dscnt 0x0
	s_barrier_signal -1
	s_barrier_wait -1
	v_cmpx_gt_u32_e32 0xff, v0
	s_cbranch_execz .LBB73_40
; %bb.38:
	ds_load_b64 v[8:9], v1 offset:8
	v_cmp_lt_i64_e64 s0, -1, v[4:5]
	s_wait_dscnt 0x0
	v_cmp_ne_u64_e32 vcc_lo, v[4:5], v[8:9]
	s_and_b32 s0, s0, vcc_lo
	s_delay_alu instid0(SALU_CYCLE_1)
	s_and_b32 exec_lo, exec_lo, s0
	s_cbranch_execz .LBB73_40
; %bb.39:
	v_mul_f64_e32 v[8:9], v[2:3], v[6:7]
	s_wait_kmcnt 0x0
	v_lshl_add_u64 v[10:11], v[4:5], 3, s[2:3]
	global_atomic_add_f64 v[10:11], v[8:9], off scope:SCOPE_DEV
.LBB73_40:
	s_wait_xcnt 0x0
	s_or_b32 exec_lo, exec_lo, s1
	v_cmp_lt_i64_e32 vcc_lo, -1, v[4:5]
	v_cmp_eq_u32_e64 s0, 0xff, v0
	s_and_b32 s0, s0, vcc_lo
	s_delay_alu instid0(SALU_CYCLE_1)
	s_and_b32 exec_lo, exec_lo, s0
	s_cbranch_execz .LBB73_42
; %bb.41:
	v_mul_f64_e32 v[0:1], v[2:3], v[6:7]
	s_wait_kmcnt 0x0
	v_lshl_add_u64 v[2:3], v[4:5], 3, s[2:3]
	global_atomic_add_f64 v[2:3], v[0:1], off scope:SCOPE_DEV
.LBB73_42:
	s_endpgm
	.section	.rodata,"a",@progbits
	.p2align	6, 0x0
	.amdhsa_kernel _ZN9rocsparseL23coomvn_aos_atomic_loopsILj256ELj1ElfdddEEvlNS_24const_host_device_scalarIT5_EEPKT1_PKT2_PKT3_PT4_21rocsparse_index_base_b
		.amdhsa_group_segment_fixed_size 4096
		.amdhsa_private_segment_fixed_size 0
		.amdhsa_kernarg_size 56
		.amdhsa_user_sgpr_count 2
		.amdhsa_user_sgpr_dispatch_ptr 0
		.amdhsa_user_sgpr_queue_ptr 0
		.amdhsa_user_sgpr_kernarg_segment_ptr 1
		.amdhsa_user_sgpr_dispatch_id 0
		.amdhsa_user_sgpr_kernarg_preload_length 0
		.amdhsa_user_sgpr_kernarg_preload_offset 0
		.amdhsa_user_sgpr_private_segment_size 0
		.amdhsa_wavefront_size32 1
		.amdhsa_uses_dynamic_stack 0
		.amdhsa_enable_private_segment 0
		.amdhsa_system_sgpr_workgroup_id_x 1
		.amdhsa_system_sgpr_workgroup_id_y 0
		.amdhsa_system_sgpr_workgroup_id_z 0
		.amdhsa_system_sgpr_workgroup_info 0
		.amdhsa_system_vgpr_workitem_id 0
		.amdhsa_next_free_vgpr 12
		.amdhsa_next_free_sgpr 12
		.amdhsa_named_barrier_count 0
		.amdhsa_reserve_vcc 1
		.amdhsa_float_round_mode_32 0
		.amdhsa_float_round_mode_16_64 0
		.amdhsa_float_denorm_mode_32 3
		.amdhsa_float_denorm_mode_16_64 3
		.amdhsa_fp16_overflow 0
		.amdhsa_memory_ordered 1
		.amdhsa_forward_progress 1
		.amdhsa_inst_pref_size 11
		.amdhsa_round_robin_scheduling 0
		.amdhsa_exception_fp_ieee_invalid_op 0
		.amdhsa_exception_fp_denorm_src 0
		.amdhsa_exception_fp_ieee_div_zero 0
		.amdhsa_exception_fp_ieee_overflow 0
		.amdhsa_exception_fp_ieee_underflow 0
		.amdhsa_exception_fp_ieee_inexact 0
		.amdhsa_exception_int_div_zero 0
	.end_amdhsa_kernel
	.section	.text._ZN9rocsparseL23coomvn_aos_atomic_loopsILj256ELj1ElfdddEEvlNS_24const_host_device_scalarIT5_EEPKT1_PKT2_PKT3_PT4_21rocsparse_index_base_b,"axG",@progbits,_ZN9rocsparseL23coomvn_aos_atomic_loopsILj256ELj1ElfdddEEvlNS_24const_host_device_scalarIT5_EEPKT1_PKT2_PKT3_PT4_21rocsparse_index_base_b,comdat
.Lfunc_end73:
	.size	_ZN9rocsparseL23coomvn_aos_atomic_loopsILj256ELj1ElfdddEEvlNS_24const_host_device_scalarIT5_EEPKT1_PKT2_PKT3_PT4_21rocsparse_index_base_b, .Lfunc_end73-_ZN9rocsparseL23coomvn_aos_atomic_loopsILj256ELj1ElfdddEEvlNS_24const_host_device_scalarIT5_EEPKT1_PKT2_PKT3_PT4_21rocsparse_index_base_b
                                        ; -- End function
	.set _ZN9rocsparseL23coomvn_aos_atomic_loopsILj256ELj1ElfdddEEvlNS_24const_host_device_scalarIT5_EEPKT1_PKT2_PKT3_PT4_21rocsparse_index_base_b.num_vgpr, 12
	.set _ZN9rocsparseL23coomvn_aos_atomic_loopsILj256ELj1ElfdddEEvlNS_24const_host_device_scalarIT5_EEPKT1_PKT2_PKT3_PT4_21rocsparse_index_base_b.num_agpr, 0
	.set _ZN9rocsparseL23coomvn_aos_atomic_loopsILj256ELj1ElfdddEEvlNS_24const_host_device_scalarIT5_EEPKT1_PKT2_PKT3_PT4_21rocsparse_index_base_b.numbered_sgpr, 12
	.set _ZN9rocsparseL23coomvn_aos_atomic_loopsILj256ELj1ElfdddEEvlNS_24const_host_device_scalarIT5_EEPKT1_PKT2_PKT3_PT4_21rocsparse_index_base_b.num_named_barrier, 0
	.set _ZN9rocsparseL23coomvn_aos_atomic_loopsILj256ELj1ElfdddEEvlNS_24const_host_device_scalarIT5_EEPKT1_PKT2_PKT3_PT4_21rocsparse_index_base_b.private_seg_size, 0
	.set _ZN9rocsparseL23coomvn_aos_atomic_loopsILj256ELj1ElfdddEEvlNS_24const_host_device_scalarIT5_EEPKT1_PKT2_PKT3_PT4_21rocsparse_index_base_b.uses_vcc, 1
	.set _ZN9rocsparseL23coomvn_aos_atomic_loopsILj256ELj1ElfdddEEvlNS_24const_host_device_scalarIT5_EEPKT1_PKT2_PKT3_PT4_21rocsparse_index_base_b.uses_flat_scratch, 0
	.set _ZN9rocsparseL23coomvn_aos_atomic_loopsILj256ELj1ElfdddEEvlNS_24const_host_device_scalarIT5_EEPKT1_PKT2_PKT3_PT4_21rocsparse_index_base_b.has_dyn_sized_stack, 0
	.set _ZN9rocsparseL23coomvn_aos_atomic_loopsILj256ELj1ElfdddEEvlNS_24const_host_device_scalarIT5_EEPKT1_PKT2_PKT3_PT4_21rocsparse_index_base_b.has_recursion, 0
	.set _ZN9rocsparseL23coomvn_aos_atomic_loopsILj256ELj1ElfdddEEvlNS_24const_host_device_scalarIT5_EEPKT1_PKT2_PKT3_PT4_21rocsparse_index_base_b.has_indirect_call, 0
	.section	.AMDGPU.csdata,"",@progbits
; Kernel info:
; codeLenInByte = 1360
; TotalNumSgprs: 14
; NumVgprs: 12
; ScratchSize: 0
; MemoryBound: 0
; FloatMode: 240
; IeeeMode: 1
; LDSByteSize: 4096 bytes/workgroup (compile time only)
; SGPRBlocks: 0
; VGPRBlocks: 0
; NumSGPRsForWavesPerEU: 14
; NumVGPRsForWavesPerEU: 12
; NamedBarCnt: 0
; Occupancy: 16
; WaveLimiterHint : 1
; COMPUTE_PGM_RSRC2:SCRATCH_EN: 0
; COMPUTE_PGM_RSRC2:USER_SGPR: 2
; COMPUTE_PGM_RSRC2:TRAP_HANDLER: 0
; COMPUTE_PGM_RSRC2:TGID_X_EN: 1
; COMPUTE_PGM_RSRC2:TGID_Y_EN: 0
; COMPUTE_PGM_RSRC2:TGID_Z_EN: 0
; COMPUTE_PGM_RSRC2:TIDIG_COMP_CNT: 0
	.section	.text._ZN9rocsparseL17coomvt_aos_kernelILj1024ElfdddEEv20rocsparse_operation_lNS_24const_host_device_scalarIT4_EEPKT0_PKT1_PKT2_PT3_21rocsparse_index_base_b,"axG",@progbits,_ZN9rocsparseL17coomvt_aos_kernelILj1024ElfdddEEv20rocsparse_operation_lNS_24const_host_device_scalarIT4_EEPKT0_PKT1_PKT2_PT3_21rocsparse_index_base_b,comdat
	.globl	_ZN9rocsparseL17coomvt_aos_kernelILj1024ElfdddEEv20rocsparse_operation_lNS_24const_host_device_scalarIT4_EEPKT0_PKT1_PKT2_PT3_21rocsparse_index_base_b ; -- Begin function _ZN9rocsparseL17coomvt_aos_kernelILj1024ElfdddEEv20rocsparse_operation_lNS_24const_host_device_scalarIT4_EEPKT0_PKT1_PKT2_PT3_21rocsparse_index_base_b
	.p2align	8
	.type	_ZN9rocsparseL17coomvt_aos_kernelILj1024ElfdddEEv20rocsparse_operation_lNS_24const_host_device_scalarIT4_EEPKT0_PKT1_PKT2_PT3_21rocsparse_index_base_b,@function
_ZN9rocsparseL17coomvt_aos_kernelILj1024ElfdddEEv20rocsparse_operation_lNS_24const_host_device_scalarIT4_EEPKT0_PKT1_PKT2_PT3_21rocsparse_index_base_b: ; @_ZN9rocsparseL17coomvt_aos_kernelILj1024ElfdddEEv20rocsparse_operation_lNS_24const_host_device_scalarIT4_EEPKT0_PKT1_PKT2_PT3_21rocsparse_index_base_b
; %bb.0:
	s_clause 0x1
	s_load_b64 s[2:3], s[0:1], 0x38
	s_load_b128 s[4:7], s[0:1], 0x8
	s_wait_kmcnt 0x0
	s_bitcmp1_b32 s3, 0
	v_mov_b64_e32 v[2:3], s[6:7]
	s_cselect_b32 s3, -1, 0
	s_delay_alu instid0(SALU_CYCLE_1)
	s_and_b32 vcc_lo, exec_lo, s3
	s_cbranch_vccnz .LBB74_2
; %bb.1:
	v_mov_b32_e32 v1, 0
	flat_load_b64 v[2:3], v1, s[6:7]
.LBB74_2:
	s_mov_b32 s3, exec_lo
	s_wait_loadcnt_dscnt 0x0
	s_delay_alu instid0(VALU_DEP_1)
	v_cmpx_neq_f64_e32 0, v[2:3]
	s_cbranch_execz .LBB74_5
; %bb.3:
	s_load_b32 s3, s[0:1], 0x4c
	s_bfe_u32 s6, ttmp6, 0x4000c
	s_and_b32 s7, ttmp6, 15
	s_add_co_i32 s6, s6, 1
	s_getreg_b32 s8, hwreg(HW_REG_IB_STS2, 6, 4)
	s_mul_i32 s6, ttmp9, s6
	v_mov_b32_e32 v1, 0
	s_add_co_i32 s7, s7, s6
	s_wait_kmcnt 0x0
	s_and_b32 s3, s3, 0xffff
	s_cmp_eq_u32 s8, 0
	s_cselect_b32 s6, ttmp9, s7
	s_delay_alu instid0(SALU_CYCLE_1) | instskip(SKIP_1) | instid1(VALU_DEP_1)
	v_mad_u32 v0, s6, s3, v0
	s_mov_b32 s3, 0
	v_cmp_gt_i64_e32 vcc_lo, s[4:5], v[0:1]
	s_and_b32 exec_lo, exec_lo, vcc_lo
	s_cbranch_execz .LBB74_5
; %bb.4:
	s_load_b256 s[4:11], s[0:1], 0x18
	s_wait_kmcnt 0x0
	v_lshl_add_u64 v[4:5], v[0:1], 4, s[4:5]
	v_lshl_add_u64 v[0:1], v[0:1], 2, s[6:7]
	global_load_b128 v[4:7], v[4:5], off
	global_load_b32 v8, v[0:1], off
	s_wait_loadcnt 0x1
	s_wait_xcnt 0x0
	v_sub_nc_u64_e64 v[0:1], v[4:5], s[2:3]
	s_wait_loadcnt 0x0
	v_cvt_f64_f32_e32 v[4:5], v8
	s_delay_alu instid0(VALU_DEP_2) | instskip(SKIP_3) | instid1(VALU_DEP_1)
	v_lshl_add_u64 v[0:1], v[0:1], 3, s[8:9]
	global_load_b64 v[0:1], v[0:1], off
	v_mul_f64_e32 v[2:3], v[2:3], v[4:5]
	s_wait_loadcnt 0x0
	v_mul_f64_e32 v[0:1], v[0:1], v[2:3]
	v_sub_nc_u64_e64 v[2:3], v[6:7], s[2:3]
	s_delay_alu instid0(VALU_DEP_1)
	v_lshl_add_u64 v[2:3], v[2:3], 3, s[10:11]
	global_atomic_add_f64 v[2:3], v[0:1], off scope:SCOPE_DEV
.LBB74_5:
	s_endpgm
	.section	.rodata,"a",@progbits
	.p2align	6, 0x0
	.amdhsa_kernel _ZN9rocsparseL17coomvt_aos_kernelILj1024ElfdddEEv20rocsparse_operation_lNS_24const_host_device_scalarIT4_EEPKT0_PKT1_PKT2_PT3_21rocsparse_index_base_b
		.amdhsa_group_segment_fixed_size 0
		.amdhsa_private_segment_fixed_size 0
		.amdhsa_kernarg_size 320
		.amdhsa_user_sgpr_count 2
		.amdhsa_user_sgpr_dispatch_ptr 0
		.amdhsa_user_sgpr_queue_ptr 0
		.amdhsa_user_sgpr_kernarg_segment_ptr 1
		.amdhsa_user_sgpr_dispatch_id 0
		.amdhsa_user_sgpr_kernarg_preload_length 0
		.amdhsa_user_sgpr_kernarg_preload_offset 0
		.amdhsa_user_sgpr_private_segment_size 0
		.amdhsa_wavefront_size32 1
		.amdhsa_uses_dynamic_stack 0
		.amdhsa_enable_private_segment 0
		.amdhsa_system_sgpr_workgroup_id_x 1
		.amdhsa_system_sgpr_workgroup_id_y 0
		.amdhsa_system_sgpr_workgroup_id_z 0
		.amdhsa_system_sgpr_workgroup_info 0
		.amdhsa_system_vgpr_workitem_id 0
		.amdhsa_next_free_vgpr 9
		.amdhsa_next_free_sgpr 12
		.amdhsa_named_barrier_count 0
		.amdhsa_reserve_vcc 1
		.amdhsa_float_round_mode_32 0
		.amdhsa_float_round_mode_16_64 0
		.amdhsa_float_denorm_mode_32 3
		.amdhsa_float_denorm_mode_16_64 3
		.amdhsa_fp16_overflow 0
		.amdhsa_memory_ordered 1
		.amdhsa_forward_progress 1
		.amdhsa_inst_pref_size 3
		.amdhsa_round_robin_scheduling 0
		.amdhsa_exception_fp_ieee_invalid_op 0
		.amdhsa_exception_fp_denorm_src 0
		.amdhsa_exception_fp_ieee_div_zero 0
		.amdhsa_exception_fp_ieee_overflow 0
		.amdhsa_exception_fp_ieee_underflow 0
		.amdhsa_exception_fp_ieee_inexact 0
		.amdhsa_exception_int_div_zero 0
	.end_amdhsa_kernel
	.section	.text._ZN9rocsparseL17coomvt_aos_kernelILj1024ElfdddEEv20rocsparse_operation_lNS_24const_host_device_scalarIT4_EEPKT0_PKT1_PKT2_PT3_21rocsparse_index_base_b,"axG",@progbits,_ZN9rocsparseL17coomvt_aos_kernelILj1024ElfdddEEv20rocsparse_operation_lNS_24const_host_device_scalarIT4_EEPKT0_PKT1_PKT2_PT3_21rocsparse_index_base_b,comdat
.Lfunc_end74:
	.size	_ZN9rocsparseL17coomvt_aos_kernelILj1024ElfdddEEv20rocsparse_operation_lNS_24const_host_device_scalarIT4_EEPKT0_PKT1_PKT2_PT3_21rocsparse_index_base_b, .Lfunc_end74-_ZN9rocsparseL17coomvt_aos_kernelILj1024ElfdddEEv20rocsparse_operation_lNS_24const_host_device_scalarIT4_EEPKT0_PKT1_PKT2_PT3_21rocsparse_index_base_b
                                        ; -- End function
	.set _ZN9rocsparseL17coomvt_aos_kernelILj1024ElfdddEEv20rocsparse_operation_lNS_24const_host_device_scalarIT4_EEPKT0_PKT1_PKT2_PT3_21rocsparse_index_base_b.num_vgpr, 9
	.set _ZN9rocsparseL17coomvt_aos_kernelILj1024ElfdddEEv20rocsparse_operation_lNS_24const_host_device_scalarIT4_EEPKT0_PKT1_PKT2_PT3_21rocsparse_index_base_b.num_agpr, 0
	.set _ZN9rocsparseL17coomvt_aos_kernelILj1024ElfdddEEv20rocsparse_operation_lNS_24const_host_device_scalarIT4_EEPKT0_PKT1_PKT2_PT3_21rocsparse_index_base_b.numbered_sgpr, 12
	.set _ZN9rocsparseL17coomvt_aos_kernelILj1024ElfdddEEv20rocsparse_operation_lNS_24const_host_device_scalarIT4_EEPKT0_PKT1_PKT2_PT3_21rocsparse_index_base_b.num_named_barrier, 0
	.set _ZN9rocsparseL17coomvt_aos_kernelILj1024ElfdddEEv20rocsparse_operation_lNS_24const_host_device_scalarIT4_EEPKT0_PKT1_PKT2_PT3_21rocsparse_index_base_b.private_seg_size, 0
	.set _ZN9rocsparseL17coomvt_aos_kernelILj1024ElfdddEEv20rocsparse_operation_lNS_24const_host_device_scalarIT4_EEPKT0_PKT1_PKT2_PT3_21rocsparse_index_base_b.uses_vcc, 1
	.set _ZN9rocsparseL17coomvt_aos_kernelILj1024ElfdddEEv20rocsparse_operation_lNS_24const_host_device_scalarIT4_EEPKT0_PKT1_PKT2_PT3_21rocsparse_index_base_b.uses_flat_scratch, 0
	.set _ZN9rocsparseL17coomvt_aos_kernelILj1024ElfdddEEv20rocsparse_operation_lNS_24const_host_device_scalarIT4_EEPKT0_PKT1_PKT2_PT3_21rocsparse_index_base_b.has_dyn_sized_stack, 0
	.set _ZN9rocsparseL17coomvt_aos_kernelILj1024ElfdddEEv20rocsparse_operation_lNS_24const_host_device_scalarIT4_EEPKT0_PKT1_PKT2_PT3_21rocsparse_index_base_b.has_recursion, 0
	.set _ZN9rocsparseL17coomvt_aos_kernelILj1024ElfdddEEv20rocsparse_operation_lNS_24const_host_device_scalarIT4_EEPKT0_PKT1_PKT2_PT3_21rocsparse_index_base_b.has_indirect_call, 0
	.section	.AMDGPU.csdata,"",@progbits
; Kernel info:
; codeLenInByte = 320
; TotalNumSgprs: 14
; NumVgprs: 9
; ScratchSize: 0
; MemoryBound: 0
; FloatMode: 240
; IeeeMode: 1
; LDSByteSize: 0 bytes/workgroup (compile time only)
; SGPRBlocks: 0
; VGPRBlocks: 0
; NumSGPRsForWavesPerEU: 14
; NumVGPRsForWavesPerEU: 9
; NamedBarCnt: 0
; Occupancy: 16
; WaveLimiterHint : 1
; COMPUTE_PGM_RSRC2:SCRATCH_EN: 0
; COMPUTE_PGM_RSRC2:USER_SGPR: 2
; COMPUTE_PGM_RSRC2:TRAP_HANDLER: 0
; COMPUTE_PGM_RSRC2:TGID_X_EN: 1
; COMPUTE_PGM_RSRC2:TGID_Y_EN: 0
; COMPUTE_PGM_RSRC2:TGID_Z_EN: 0
; COMPUTE_PGM_RSRC2:TIDIG_COMP_CNT: 0
	.section	.text._ZN9rocsparseL26coomvn_aos_segmented_loopsILj256ElfdddEEvlT0_NS_24const_host_device_scalarIT4_EEPKS1_PKT1_PKT2_PT3_PS1_PS3_21rocsparse_index_base_b,"axG",@progbits,_ZN9rocsparseL26coomvn_aos_segmented_loopsILj256ElfdddEEvlT0_NS_24const_host_device_scalarIT4_EEPKS1_PKT1_PKT2_PT3_PS1_PS3_21rocsparse_index_base_b,comdat
	.globl	_ZN9rocsparseL26coomvn_aos_segmented_loopsILj256ElfdddEEvlT0_NS_24const_host_device_scalarIT4_EEPKS1_PKT1_PKT2_PT3_PS1_PS3_21rocsparse_index_base_b ; -- Begin function _ZN9rocsparseL26coomvn_aos_segmented_loopsILj256ElfdddEEvlT0_NS_24const_host_device_scalarIT4_EEPKS1_PKT1_PKT2_PT3_PS1_PS3_21rocsparse_index_base_b
	.p2align	8
	.type	_ZN9rocsparseL26coomvn_aos_segmented_loopsILj256ElfdddEEvlT0_NS_24const_host_device_scalarIT4_EEPKS1_PKT1_PKT2_PT3_PS1_PS3_21rocsparse_index_base_b,@function
_ZN9rocsparseL26coomvn_aos_segmented_loopsILj256ElfdddEEvlT0_NS_24const_host_device_scalarIT4_EEPKS1_PKT1_PKT2_PT3_PS1_PS3_21rocsparse_index_base_b: ; @_ZN9rocsparseL26coomvn_aos_segmented_loopsILj256ElfdddEEvlT0_NS_24const_host_device_scalarIT4_EEPKS1_PKT1_PKT2_PT3_PS1_PS3_21rocsparse_index_base_b
; %bb.0:
	s_clause 0x1
	s_load_b64 s[14:15], s[0:1], 0x48
	s_load_b64 s[2:3], s[0:1], 0x10
	s_wait_kmcnt 0x0
	s_bitcmp1_b32 s15, 0
	v_mov_b64_e32 v[2:3], s[2:3]
	s_cselect_b32 s4, -1, 0
	s_delay_alu instid0(SALU_CYCLE_1)
	s_and_b32 vcc_lo, exec_lo, s4
	s_cbranch_vccnz .LBB75_2
; %bb.1:
	v_mov_b32_e32 v1, 0
	flat_load_b64 v[2:3], v1, s[2:3]
.LBB75_2:
	s_wait_xcnt 0x0
	s_mov_b32 s2, exec_lo
	s_wait_loadcnt_dscnt 0x0
	v_cmpx_neq_f64_e32 0, v[2:3]
	s_cbranch_execz .LBB75_89
; %bb.3:
	s_clause 0x1
	s_load_b128 s[16:19], s[0:1], 0x0
	s_load_b64 s[28:29], s[0:1], 0x28
	s_bfe_u32 s2, ttmp6, 0x4000c
	s_load_b128 s[20:23], s[0:1], 0x18
	s_add_co_i32 s2, s2, 1
	s_and_b32 s3, ttmp6, 15
	s_mul_i32 s2, ttmp9, s2
	s_getreg_b32 s4, hwreg(HW_REG_IB_STS2, 6, 4)
	s_add_co_i32 s3, s3, s2
	s_cmp_eq_u32 s4, 0
	s_mov_b32 s25, 0
	s_cselect_b32 s24, ttmp9, s3
	v_mov_b64_e32 v[6:7], 0
	v_mov_b64_e32 v[4:5], -1
	s_wait_kmcnt 0x0
	s_mul_u64 s[30:31], s[24:25], s[18:19]
	s_delay_alu instid0(SALU_CYCLE_1) | instskip(NEXT) | instid1(SALU_CYCLE_1)
	s_lshl_b64 s[2:3], s[30:31], 8
	v_dual_mov_b32 v9, s3 :: v_dual_bitop2_b32 v8, s2, v0 bitop3:0x54
	s_mov_b32 s2, exec_lo
	s_delay_alu instid0(VALU_DEP_1)
	v_cmpx_gt_i64_e64 s[16:17], v[8:9]
	s_cbranch_execz .LBB75_5
; %bb.4:
	v_lshl_add_u64 v[4:5], v[8:9], 4, s[20:21]
	v_lshl_add_u64 v[10:11], v[8:9], 2, s[22:23]
	s_mov_b32 s15, s25
	global_load_b128 v[4:7], v[4:5], off th:TH_LOAD_NT
	global_load_b32 v1, v[10:11], off th:TH_LOAD_NT
	s_wait_loadcnt 0x1
	v_lshl_add_u64 v[6:7], v[6:7], 3, s[28:29]
	v_sub_nc_u64_e64 v[4:5], v[4:5], s[14:15]
	s_ashr_i32 s15, s14, 31
	s_wait_loadcnt 0x0
	v_cvt_f64_f32_e32 v[10:11], v1
	s_lshl_b64 s[4:5], s[14:15], 3
	s_delay_alu instid0(SALU_CYCLE_1)
	v_sub_nc_u64_e64 v[6:7], v[6:7], s[4:5]
	global_load_b64 v[6:7], v[6:7], off
	s_wait_loadcnt 0x0
	v_mul_f64_e32 v[6:7], v[6:7], v[10:11]
.LBB75_5:
	s_or_b32 exec_lo, exec_lo, s2
	v_lshlrev_b32_e32 v1, 3, v0
	v_cmp_eq_u32_e64 s2, 0, v0
	v_cmp_ne_u32_e64 s3, 0, v0
	s_delay_alu instid0(VALU_DEP_3)
	v_or_b32_e32 v18, 0x800, v1
	v_add_nc_u32_e32 v19, -8, v1
	ds_store_2addr_stride64_b64 v1, v[4:5], v[6:7] offset1:4
	s_wait_dscnt 0x0
	s_barrier_signal -1
	s_barrier_wait -1
	s_and_saveexec_b32 s4, s3
	s_cbranch_execz .LBB75_9
; %bb.6:
	ds_load_b64 v[10:11], v19
	s_mov_b32 s5, exec_lo
	s_wait_dscnt 0x0
	v_cmpx_eq_u64_e64 v[4:5], v[10:11]
	s_cbranch_execz .LBB75_8
; %bb.7:
	v_add_nc_u32_e32 v10, -8, v18
	ds_load_b64 v[10:11], v10
	s_wait_dscnt 0x0
	v_add_f64_e32 v[6:7], v[6:7], v[10:11]
.LBB75_8:
	s_or_b32 exec_lo, exec_lo, s5
.LBB75_9:
	s_delay_alu instid0(SALU_CYCLE_1)
	s_or_b32 exec_lo, exec_lo, s4
	v_cmp_lt_u32_e64 s4, 1, v0
	v_add_nc_u32_e32 v20, -16, v1
	s_barrier_signal -1
	s_barrier_wait -1
	ds_store_b64 v18, v[6:7]
	s_wait_dscnt 0x0
	s_barrier_signal -1
	s_barrier_wait -1
	s_and_saveexec_b32 s5, s4
	s_cbranch_execz .LBB75_13
; %bb.10:
	ds_load_b64 v[10:11], v20
	s_mov_b32 s6, exec_lo
	s_wait_dscnt 0x0
	v_cmpx_eq_u64_e64 v[4:5], v[10:11]
	s_cbranch_execz .LBB75_12
; %bb.11:
	v_add_nc_u32_e32 v10, -16, v18
	ds_load_b64 v[10:11], v10
	s_wait_dscnt 0x0
	v_add_f64_e32 v[6:7], v[6:7], v[10:11]
.LBB75_12:
	s_or_b32 exec_lo, exec_lo, s6
.LBB75_13:
	s_delay_alu instid0(SALU_CYCLE_1)
	s_or_b32 exec_lo, exec_lo, s5
	v_cmp_lt_u32_e64 s5, 3, v0
	v_subrev_nc_u32_e32 v21, 32, v1
	s_barrier_signal -1
	s_barrier_wait -1
	ds_store_b64 v18, v[6:7]
	s_wait_dscnt 0x0
	s_barrier_signal -1
	s_barrier_wait -1
	s_and_saveexec_b32 s6, s5
	s_cbranch_execz .LBB75_17
; %bb.14:
	ds_load_b64 v[10:11], v21
	s_mov_b32 s7, exec_lo
	s_wait_dscnt 0x0
	v_cmpx_eq_u64_e64 v[4:5], v[10:11]
	s_cbranch_execz .LBB75_16
; %bb.15:
	v_subrev_nc_u32_e32 v10, 32, v18
	ds_load_b64 v[10:11], v10
	s_wait_dscnt 0x0
	v_add_f64_e32 v[6:7], v[6:7], v[10:11]
.LBB75_16:
	s_or_b32 exec_lo, exec_lo, s7
.LBB75_17:
	s_delay_alu instid0(SALU_CYCLE_1)
	s_or_b32 exec_lo, exec_lo, s6
	v_cmp_lt_u32_e64 s6, 7, v0
	v_subrev_nc_u32_e32 v22, 64, v1
	s_barrier_signal -1
	s_barrier_wait -1
	ds_store_b64 v18, v[6:7]
	s_wait_dscnt 0x0
	s_barrier_signal -1
	s_barrier_wait -1
	s_and_saveexec_b32 s7, s6
	s_cbranch_execz .LBB75_21
; %bb.18:
	ds_load_b64 v[10:11], v22
	s_mov_b32 s8, exec_lo
	s_wait_dscnt 0x0
	v_cmpx_eq_u64_e64 v[4:5], v[10:11]
	s_cbranch_execz .LBB75_20
; %bb.19:
	v_subrev_nc_u32_e32 v10, 64, v18
	ds_load_b64 v[10:11], v10
	s_wait_dscnt 0x0
	v_add_f64_e32 v[6:7], v[6:7], v[10:11]
.LBB75_20:
	s_or_b32 exec_lo, exec_lo, s8
.LBB75_21:
	s_delay_alu instid0(SALU_CYCLE_1)
	s_or_b32 exec_lo, exec_lo, s7
	v_cmp_lt_u32_e64 s7, 15, v0
	v_add_nc_u32_e32 v23, 0xffffff80, v1
	s_barrier_signal -1
	s_barrier_wait -1
	ds_store_b64 v18, v[6:7]
	s_wait_dscnt 0x0
	s_barrier_signal -1
	s_barrier_wait -1
	s_and_saveexec_b32 s8, s7
	s_cbranch_execz .LBB75_25
; %bb.22:
	ds_load_b64 v[10:11], v23
	s_mov_b32 s9, exec_lo
	s_wait_dscnt 0x0
	v_cmpx_eq_u64_e64 v[4:5], v[10:11]
	s_cbranch_execz .LBB75_24
; %bb.23:
	v_add_nc_u32_e32 v10, 0xffffff80, v18
	ds_load_b64 v[10:11], v10
	s_wait_dscnt 0x0
	v_add_f64_e32 v[6:7], v[6:7], v[10:11]
.LBB75_24:
	s_or_b32 exec_lo, exec_lo, s9
.LBB75_25:
	s_delay_alu instid0(SALU_CYCLE_1)
	s_or_b32 exec_lo, exec_lo, s8
	v_cmp_lt_u32_e64 s8, 31, v0
	v_add_nc_u32_e32 v24, 0xffffff00, v1
	s_barrier_signal -1
	s_barrier_wait -1
	ds_store_b64 v18, v[6:7]
	s_wait_dscnt 0x0
	s_barrier_signal -1
	s_barrier_wait -1
	s_and_saveexec_b32 s9, s8
	s_cbranch_execz .LBB75_29
; %bb.26:
	ds_load_b64 v[10:11], v24
	s_mov_b32 s10, exec_lo
	s_wait_dscnt 0x0
	v_cmpx_eq_u64_e64 v[4:5], v[10:11]
	s_cbranch_execz .LBB75_28
; %bb.27:
	v_add_nc_u32_e32 v10, 0xffffff00, v18
	ds_load_b64 v[10:11], v10
	s_wait_dscnt 0x0
	v_add_f64_e32 v[6:7], v[6:7], v[10:11]
.LBB75_28:
	s_or_b32 exec_lo, exec_lo, s10
.LBB75_29:
	;; [unrolled: 26-line block ×4, first 2 shown]
	s_delay_alu instid0(SALU_CYCLE_1)
	s_or_b32 exec_lo, exec_lo, s11
	s_load_b64 s[26:27], s[0:1], 0x30
	v_cmp_gt_u32_e64 s11, 0xff, v0
	s_barrier_signal -1
	s_barrier_wait -1
	ds_store_b64 v18, v[6:7]
	s_wait_dscnt 0x0
	s_barrier_signal -1
	s_barrier_wait -1
	s_and_saveexec_b32 s13, s11
	s_cbranch_execz .LBB75_40
; %bb.38:
	ds_load_b64 v[10:11], v1 offset:8
	v_cmp_lt_i64_e64 s12, -1, v[4:5]
	s_wait_dscnt 0x0
	v_cmp_ne_u64_e32 vcc_lo, v[4:5], v[10:11]
	s_and_b32 s12, s12, vcc_lo
	s_delay_alu instid0(SALU_CYCLE_1)
	s_and_b32 exec_lo, exec_lo, s12
	s_cbranch_execz .LBB75_40
; %bb.39:
	s_wait_kmcnt 0x0
	v_lshl_add_u64 v[10:11], v[4:5], 3, s[26:27]
	global_load_b64 v[12:13], v[10:11], off
	s_wait_loadcnt 0x0
	v_fmac_f64_e32 v[12:13], v[2:3], v[6:7]
	global_store_b64 v[10:11], v[12:13], off
.LBB75_40:
	s_wait_xcnt 0x0
	s_or_b32 exec_lo, exec_lo, s13
	v_cmp_lt_i64_e64 s12, s[18:19], 2
	s_and_b32 vcc_lo, exec_lo, s12
	s_cbranch_vccnz .LBB75_87
; %bb.41:
	v_dual_mov_b32 v11, 0 :: v_dual_lshlrev_b32 v10, 2, v0
	s_lshl_b64 s[12:13], s[30:31], 10
	v_add_nc_u64_e32 v[8:9], 0x100, v[8:9]
	s_add_nc_u64 s[12:13], s[22:23], s[12:13]
	v_add_nc_u32_e32 v27, -8, v18
	v_add_nc_u64_e32 v[4:5], s[12:13], v[10:11]
	v_lshlrev_b32_e32 v10, 4, v0
	s_lshl_b64 s[12:13], s[30:31], 12
	s_ashr_i32 s35, s14, 31
	s_add_nc_u64 s[12:13], s[20:21], s[12:13]
	s_mov_b32 s34, s14
	v_add_nc_u64_e32 v[6:7], s[12:13], v[10:11]
	v_add_nc_u64_e32 v[12:13], 0x400, v[4:5]
	v_add_nc_u32_e32 v10, -16, v18
	v_subrev_nc_u32_e32 v28, 32, v18
	v_subrev_nc_u32_e32 v29, 64, v18
	v_add_nc_u32_e32 v30, 0xffffff80, v18
	v_add_nc_u32_e32 v31, 0xffffff00, v18
	v_add_nc_u64_e32 v[14:15], 0x1000, v[6:7]
	v_add_nc_u32_e32 v32, 0xfffffe00, v18
	v_add_nc_u32_e32 v33, 0xfffffc00, v18
	s_lshl_b64 s[22:23], s[34:35], 3
	s_add_nc_u64 s[18:19], s[18:19], -1
	s_mov_b32 s15, 0
	s_sub_nc_u64 s[20:21], s[28:29], s[22:23]
	s_mov_b64 s[22:23], 0
	s_branch .LBB75_43
.LBB75_42:                              ;   in Loop: Header=BB75_43 Depth=1
	s_wait_xcnt 0x0
	s_or_b32 exec_lo, exec_lo, s13
	s_add_nc_u64 s[22:23], s[22:23], 1
	v_add_nc_u64_e32 v[12:13], 0x400, v[12:13]
	v_cmp_le_u64_e64 s12, s[18:19], s[22:23]
	v_add_nc_u64_e32 v[14:15], 0x1000, v[14:15]
	v_add_nc_u64_e32 v[8:9], 0x100, v[8:9]
	s_and_b32 vcc_lo, exec_lo, s12
	s_cbranch_vccnz .LBB75_87
.LBB75_43:                              ; =>This Inner Loop Header: Depth=1
	v_mov_b64_e32 v[6:7], 0
	v_mov_b64_e32 v[4:5], -1
	s_mov_b32 s12, exec_lo
	s_delay_alu instid0(VALU_DEP_3)
	v_cmpx_gt_i64_e64 s[16:17], v[8:9]
	s_cbranch_execz .LBB75_45
; %bb.44:                               ;   in Loop: Header=BB75_43 Depth=1
	global_load_b128 v[4:7], v[14:15], off th:TH_LOAD_NT
	global_load_b32 v16, v[12:13], off th:TH_LOAD_NT
	s_wait_loadcnt 0x1
	v_lshl_add_u64 v[6:7], v[6:7], 3, s[20:21]
	s_wait_loadcnt 0x0
	v_cvt_f64_f32_e32 v[16:17], v16
	v_sub_nc_u64_e64 v[4:5], v[4:5], s[14:15]
	global_load_b64 v[6:7], v[6:7], off
	s_wait_loadcnt 0x0
	v_mul_f64_e32 v[6:7], v[6:7], v[16:17]
.LBB75_45:                              ;   in Loop: Header=BB75_43 Depth=1
	s_or_b32 exec_lo, exec_lo, s12
	s_and_saveexec_b32 s12, s2
	s_cbranch_execz .LBB75_52
; %bb.46:                               ;   in Loop: Header=BB75_43 Depth=1
	ds_load_b64 v[16:17], v11 offset:2040
	s_mov_b32 s13, exec_lo
	s_wait_dscnt 0x0
	v_cmpx_ne_u64_e64 v[4:5], v[16:17]
	s_xor_b32 s13, exec_lo, s13
	s_cbranch_execz .LBB75_49
; %bb.47:                               ;   in Loop: Header=BB75_43 Depth=1
	v_cmp_gt_i64_e32 vcc_lo, 0, v[16:17]
	s_cbranch_vccnz .LBB75_49
; %bb.48:                               ;   in Loop: Header=BB75_43 Depth=1
	v_lshlrev_b64_e32 v[16:17], 3, v[16:17]
	ds_load_b64 v[36:37], v11 offset:4088
	s_wait_kmcnt 0x0
	v_add_nc_u64_e32 v[16:17], s[26:27], v[16:17]
	global_load_b64 v[34:35], v[16:17], off
	s_wait_loadcnt_dscnt 0x0
	v_fmac_f64_e32 v[34:35], v[2:3], v[36:37]
	global_store_b64 v[16:17], v[34:35], off
.LBB75_49:                              ;   in Loop: Header=BB75_43 Depth=1
	s_wait_xcnt 0x0
	s_and_not1_saveexec_b32 s13, s13
	s_cbranch_execz .LBB75_51
; %bb.50:                               ;   in Loop: Header=BB75_43 Depth=1
	ds_load_b64 v[16:17], v11 offset:4088
	s_wait_dscnt 0x0
	v_add_f64_e32 v[6:7], v[6:7], v[16:17]
.LBB75_51:                              ;   in Loop: Header=BB75_43 Depth=1
	s_or_b32 exec_lo, exec_lo, s13
.LBB75_52:                              ;   in Loop: Header=BB75_43 Depth=1
	s_delay_alu instid0(SALU_CYCLE_1)
	s_or_b32 exec_lo, exec_lo, s12
	s_wait_storecnt 0x0
	s_barrier_signal -1
	s_barrier_wait -1
	ds_store_b64 v1, v[4:5]
	ds_store_b64 v18, v[6:7]
	s_wait_dscnt 0x0
	s_barrier_signal -1
	s_barrier_wait -1
	s_and_saveexec_b32 s12, s3
	s_cbranch_execz .LBB75_56
; %bb.53:                               ;   in Loop: Header=BB75_43 Depth=1
	ds_load_b64 v[16:17], v19
	s_mov_b32 s13, exec_lo
	s_wait_dscnt 0x0
	v_cmpx_eq_u64_e64 v[4:5], v[16:17]
	s_cbranch_execz .LBB75_55
; %bb.54:                               ;   in Loop: Header=BB75_43 Depth=1
	ds_load_b64 v[16:17], v27
	s_wait_dscnt 0x0
	v_add_f64_e32 v[6:7], v[6:7], v[16:17]
.LBB75_55:                              ;   in Loop: Header=BB75_43 Depth=1
	s_or_b32 exec_lo, exec_lo, s13
.LBB75_56:                              ;   in Loop: Header=BB75_43 Depth=1
	s_delay_alu instid0(SALU_CYCLE_1)
	s_or_b32 exec_lo, exec_lo, s12
	s_barrier_signal -1
	s_barrier_wait -1
	ds_store_b64 v18, v[6:7]
	s_wait_dscnt 0x0
	s_barrier_signal -1
	s_barrier_wait -1
	s_and_saveexec_b32 s12, s4
	s_cbranch_execz .LBB75_60
; %bb.57:                               ;   in Loop: Header=BB75_43 Depth=1
	ds_load_b64 v[16:17], v20
	s_mov_b32 s13, exec_lo
	s_wait_dscnt 0x0
	v_cmpx_eq_u64_e64 v[4:5], v[16:17]
	s_cbranch_execz .LBB75_59
; %bb.58:                               ;   in Loop: Header=BB75_43 Depth=1
	ds_load_b64 v[16:17], v10
	s_wait_dscnt 0x0
	v_add_f64_e32 v[6:7], v[6:7], v[16:17]
.LBB75_59:                              ;   in Loop: Header=BB75_43 Depth=1
	s_or_b32 exec_lo, exec_lo, s13
.LBB75_60:                              ;   in Loop: Header=BB75_43 Depth=1
	s_delay_alu instid0(SALU_CYCLE_1)
	s_or_b32 exec_lo, exec_lo, s12
	s_barrier_signal -1
	s_barrier_wait -1
	;; [unrolled: 23-line block ×8, first 2 shown]
	ds_store_b64 v18, v[6:7]
	s_wait_dscnt 0x0
	s_barrier_signal -1
	s_barrier_wait -1
	s_and_saveexec_b32 s13, s11
	s_cbranch_execz .LBB75_42
; %bb.85:                               ;   in Loop: Header=BB75_43 Depth=1
	ds_load_b64 v[16:17], v1 offset:8
	v_cmp_lt_i64_e64 s12, -1, v[4:5]
	s_wait_dscnt 0x0
	v_cmp_ne_u64_e32 vcc_lo, v[4:5], v[16:17]
	s_and_b32 s12, s12, vcc_lo
	s_delay_alu instid0(SALU_CYCLE_1)
	s_and_b32 exec_lo, exec_lo, s12
	s_cbranch_execz .LBB75_42
; %bb.86:                               ;   in Loop: Header=BB75_43 Depth=1
	s_wait_kmcnt 0x0
	v_lshl_add_u64 v[16:17], v[4:5], 3, s[26:27]
	global_load_b64 v[34:35], v[16:17], off
	s_wait_loadcnt 0x0
	v_fmac_f64_e32 v[34:35], v[2:3], v[6:7]
	global_store_b64 v[16:17], v[34:35], off
	s_branch .LBB75_42
.LBB75_87:
	s_load_b128 s[0:3], s[0:1], 0x38
	v_cmp_eq_u32_e32 vcc_lo, 0xff, v0
	s_and_b32 exec_lo, exec_lo, vcc_lo
	s_cbranch_execz .LBB75_89
; %bb.88:
	v_dual_mul_f64 v[0:1], v[2:3], v[6:7] :: v_dual_mov_b32 v2, 0
	s_lshl_b64 s[4:5], s[24:25], 3
	s_wait_kmcnt 0x0
	s_add_nc_u64 s[0:1], s[0:1], s[4:5]
	s_add_nc_u64 s[2:3], s[2:3], s[4:5]
	s_clause 0x1
	global_store_b64 v2, v[4:5], s[0:1] th:TH_STORE_NT
	global_store_b64 v2, v[0:1], s[2:3] th:TH_STORE_NT
.LBB75_89:
	s_endpgm
	.section	.rodata,"a",@progbits
	.p2align	6, 0x0
	.amdhsa_kernel _ZN9rocsparseL26coomvn_aos_segmented_loopsILj256ElfdddEEvlT0_NS_24const_host_device_scalarIT4_EEPKS1_PKT1_PKT2_PT3_PS1_PS3_21rocsparse_index_base_b
		.amdhsa_group_segment_fixed_size 4096
		.amdhsa_private_segment_fixed_size 0
		.amdhsa_kernarg_size 80
		.amdhsa_user_sgpr_count 2
		.amdhsa_user_sgpr_dispatch_ptr 0
		.amdhsa_user_sgpr_queue_ptr 0
		.amdhsa_user_sgpr_kernarg_segment_ptr 1
		.amdhsa_user_sgpr_dispatch_id 0
		.amdhsa_user_sgpr_kernarg_preload_length 0
		.amdhsa_user_sgpr_kernarg_preload_offset 0
		.amdhsa_user_sgpr_private_segment_size 0
		.amdhsa_wavefront_size32 1
		.amdhsa_uses_dynamic_stack 0
		.amdhsa_enable_private_segment 0
		.amdhsa_system_sgpr_workgroup_id_x 1
		.amdhsa_system_sgpr_workgroup_id_y 0
		.amdhsa_system_sgpr_workgroup_id_z 0
		.amdhsa_system_sgpr_workgroup_info 0
		.amdhsa_system_vgpr_workitem_id 0
		.amdhsa_next_free_vgpr 38
		.amdhsa_next_free_sgpr 36
		.amdhsa_named_barrier_count 0
		.amdhsa_reserve_vcc 1
		.amdhsa_float_round_mode_32 0
		.amdhsa_float_round_mode_16_64 0
		.amdhsa_float_denorm_mode_32 3
		.amdhsa_float_denorm_mode_16_64 3
		.amdhsa_fp16_overflow 0
		.amdhsa_memory_ordered 1
		.amdhsa_forward_progress 1
		.amdhsa_inst_pref_size 22
		.amdhsa_round_robin_scheduling 0
		.amdhsa_exception_fp_ieee_invalid_op 0
		.amdhsa_exception_fp_denorm_src 0
		.amdhsa_exception_fp_ieee_div_zero 0
		.amdhsa_exception_fp_ieee_overflow 0
		.amdhsa_exception_fp_ieee_underflow 0
		.amdhsa_exception_fp_ieee_inexact 0
		.amdhsa_exception_int_div_zero 0
	.end_amdhsa_kernel
	.section	.text._ZN9rocsparseL26coomvn_aos_segmented_loopsILj256ElfdddEEvlT0_NS_24const_host_device_scalarIT4_EEPKS1_PKT1_PKT2_PT3_PS1_PS3_21rocsparse_index_base_b,"axG",@progbits,_ZN9rocsparseL26coomvn_aos_segmented_loopsILj256ElfdddEEvlT0_NS_24const_host_device_scalarIT4_EEPKS1_PKT1_PKT2_PT3_PS1_PS3_21rocsparse_index_base_b,comdat
.Lfunc_end75:
	.size	_ZN9rocsparseL26coomvn_aos_segmented_loopsILj256ElfdddEEvlT0_NS_24const_host_device_scalarIT4_EEPKS1_PKT1_PKT2_PT3_PS1_PS3_21rocsparse_index_base_b, .Lfunc_end75-_ZN9rocsparseL26coomvn_aos_segmented_loopsILj256ElfdddEEvlT0_NS_24const_host_device_scalarIT4_EEPKS1_PKT1_PKT2_PT3_PS1_PS3_21rocsparse_index_base_b
                                        ; -- End function
	.set _ZN9rocsparseL26coomvn_aos_segmented_loopsILj256ElfdddEEvlT0_NS_24const_host_device_scalarIT4_EEPKS1_PKT1_PKT2_PT3_PS1_PS3_21rocsparse_index_base_b.num_vgpr, 38
	.set _ZN9rocsparseL26coomvn_aos_segmented_loopsILj256ElfdddEEvlT0_NS_24const_host_device_scalarIT4_EEPKS1_PKT1_PKT2_PT3_PS1_PS3_21rocsparse_index_base_b.num_agpr, 0
	.set _ZN9rocsparseL26coomvn_aos_segmented_loopsILj256ElfdddEEvlT0_NS_24const_host_device_scalarIT4_EEPKS1_PKT1_PKT2_PT3_PS1_PS3_21rocsparse_index_base_b.numbered_sgpr, 36
	.set _ZN9rocsparseL26coomvn_aos_segmented_loopsILj256ElfdddEEvlT0_NS_24const_host_device_scalarIT4_EEPKS1_PKT1_PKT2_PT3_PS1_PS3_21rocsparse_index_base_b.num_named_barrier, 0
	.set _ZN9rocsparseL26coomvn_aos_segmented_loopsILj256ElfdddEEvlT0_NS_24const_host_device_scalarIT4_EEPKS1_PKT1_PKT2_PT3_PS1_PS3_21rocsparse_index_base_b.private_seg_size, 0
	.set _ZN9rocsparseL26coomvn_aos_segmented_loopsILj256ElfdddEEvlT0_NS_24const_host_device_scalarIT4_EEPKS1_PKT1_PKT2_PT3_PS1_PS3_21rocsparse_index_base_b.uses_vcc, 1
	.set _ZN9rocsparseL26coomvn_aos_segmented_loopsILj256ElfdddEEvlT0_NS_24const_host_device_scalarIT4_EEPKS1_PKT1_PKT2_PT3_PS1_PS3_21rocsparse_index_base_b.uses_flat_scratch, 0
	.set _ZN9rocsparseL26coomvn_aos_segmented_loopsILj256ElfdddEEvlT0_NS_24const_host_device_scalarIT4_EEPKS1_PKT1_PKT2_PT3_PS1_PS3_21rocsparse_index_base_b.has_dyn_sized_stack, 0
	.set _ZN9rocsparseL26coomvn_aos_segmented_loopsILj256ElfdddEEvlT0_NS_24const_host_device_scalarIT4_EEPKS1_PKT1_PKT2_PT3_PS1_PS3_21rocsparse_index_base_b.has_recursion, 0
	.set _ZN9rocsparseL26coomvn_aos_segmented_loopsILj256ElfdddEEvlT0_NS_24const_host_device_scalarIT4_EEPKS1_PKT1_PKT2_PT3_PS1_PS3_21rocsparse_index_base_b.has_indirect_call, 0
	.section	.AMDGPU.csdata,"",@progbits
; Kernel info:
; codeLenInByte = 2796
; TotalNumSgprs: 38
; NumVgprs: 38
; ScratchSize: 0
; MemoryBound: 1
; FloatMode: 240
; IeeeMode: 1
; LDSByteSize: 4096 bytes/workgroup (compile time only)
; SGPRBlocks: 0
; VGPRBlocks: 2
; NumSGPRsForWavesPerEU: 38
; NumVGPRsForWavesPerEU: 38
; NamedBarCnt: 0
; Occupancy: 16
; WaveLimiterHint : 1
; COMPUTE_PGM_RSRC2:SCRATCH_EN: 0
; COMPUTE_PGM_RSRC2:USER_SGPR: 2
; COMPUTE_PGM_RSRC2:TRAP_HANDLER: 0
; COMPUTE_PGM_RSRC2:TGID_X_EN: 1
; COMPUTE_PGM_RSRC2:TGID_Y_EN: 0
; COMPUTE_PGM_RSRC2:TGID_Z_EN: 0
; COMPUTE_PGM_RSRC2:TIDIG_COMP_CNT: 0
	.section	.text._ZN9rocsparseL23coomvn_aos_atomic_loopsILj256ELj1Ei21rocsparse_complex_numIfES1_IdES3_S3_EEvlNS_24const_host_device_scalarIT5_EEPKT1_PKT2_PKT3_PT4_21rocsparse_index_base_b,"axG",@progbits,_ZN9rocsparseL23coomvn_aos_atomic_loopsILj256ELj1Ei21rocsparse_complex_numIfES1_IdES3_S3_EEvlNS_24const_host_device_scalarIT5_EEPKT1_PKT2_PKT3_PT4_21rocsparse_index_base_b,comdat
	.globl	_ZN9rocsparseL23coomvn_aos_atomic_loopsILj256ELj1Ei21rocsparse_complex_numIfES1_IdES3_S3_EEvlNS_24const_host_device_scalarIT5_EEPKT1_PKT2_PKT3_PT4_21rocsparse_index_base_b ; -- Begin function _ZN9rocsparseL23coomvn_aos_atomic_loopsILj256ELj1Ei21rocsparse_complex_numIfES1_IdES3_S3_EEvlNS_24const_host_device_scalarIT5_EEPKT1_PKT2_PKT3_PT4_21rocsparse_index_base_b
	.p2align	8
	.type	_ZN9rocsparseL23coomvn_aos_atomic_loopsILj256ELj1Ei21rocsparse_complex_numIfES1_IdES3_S3_EEvlNS_24const_host_device_scalarIT5_EEPKT1_PKT2_PKT3_PT4_21rocsparse_index_base_b,@function
_ZN9rocsparseL23coomvn_aos_atomic_loopsILj256ELj1Ei21rocsparse_complex_numIfES1_IdES3_S3_EEvlNS_24const_host_device_scalarIT5_EEPKT1_PKT2_PKT3_PT4_21rocsparse_index_base_b: ; @_ZN9rocsparseL23coomvn_aos_atomic_loopsILj256ELj1Ei21rocsparse_complex_numIfES1_IdES3_S3_EEvlNS_24const_host_device_scalarIT5_EEPKT1_PKT2_PKT3_PT4_21rocsparse_index_base_b
; %bb.0:
	s_clause 0x1
	s_load_b64 s[8:9], s[0:1], 0x38
	s_load_b128 s[4:7], s[0:1], 0x0
	v_mov_b32_e32 v13, 0
	s_or_b64 s[2:3], s[0:1], 8
	s_wait_kmcnt 0x0
	s_bitcmp1_b32 s9, 0
	s_cselect_b32 s3, s3, s7
	s_cselect_b32 s2, s2, s6
	flat_load_b128 v[2:5], v13, s[2:3]
	s_wait_loadcnt_dscnt 0x0
	v_cmp_neq_f64_e32 vcc_lo, 0, v[2:3]
	v_cmp_neq_f64_e64 s2, 0, v[4:5]
	s_or_b32 s2, vcc_lo, s2
	s_delay_alu instid0(SALU_CYCLE_1)
	s_and_saveexec_b32 s3, s2
	s_cbranch_execz .LBB76_40
; %bb.1:
	s_bfe_u32 s2, ttmp6, 0x4000c
	v_mov_b64_e32 v[6:7], 0
	s_add_co_i32 s2, s2, 1
	s_and_b32 s3, ttmp6, 15
	s_mul_i32 s2, ttmp9, s2
	s_getreg_b32 s6, hwreg(HW_REG_IB_STS2, 6, 4)
	s_add_co_i32 s3, s3, s2
	s_cmp_eq_u32 s6, 0
	v_mov_b64_e32 v[8:9], v[6:7]
	s_cselect_b32 s2, ttmp9, s3
	v_mov_b32_e32 v10, -1
	v_lshl_or_b32 v12, s2, 8, v0
	s_mov_b32 s2, exec_lo
	s_delay_alu instid0(VALU_DEP_1)
	v_cmpx_gt_i64_e64 s[4:5], v[12:13]
	s_cbranch_execz .LBB76_3
; %bb.2:
	s_clause 0x1
	s_load_b128 s[4:7], s[0:1], 0x18
	s_load_b64 s[10:11], s[0:1], 0x28
	v_lshlrev_b64_e32 v[6:7], 3, v[12:13]
	s_wait_kmcnt 0x0
	s_delay_alu instid0(VALU_DEP_1)
	v_add_nc_u64_e32 v[8:9], s[4:5], v[6:7]
	v_add_nc_u64_e32 v[6:7], s[6:7], v[6:7]
	global_load_b64 v[14:15], v[8:9], off th:TH_LOAD_NT
	global_load_b64 v[6:7], v[6:7], off th:TH_LOAD_NT
	s_wait_loadcnt 0x1
	v_subrev_nc_u32_e32 v1, s8, v15
	s_wait_loadcnt 0x0
	v_cvt_f64_f32_e32 v[16:17], v7
	v_cvt_f64_f32_e32 v[18:19], v6
	global_load_b128 v[10:13], v1, s[10:11] scale_offset
	s_wait_loadcnt 0x0
	v_mul_f64_e64 v[6:7], v[12:13], -v[16:17]
	v_mul_f64_e32 v[8:9], v[12:13], v[18:19]
	s_delay_alu instid0(VALU_DEP_2) | instskip(NEXT) | instid1(VALU_DEP_2)
	v_fmac_f64_e32 v[6:7], v[18:19], v[10:11]
	v_fmac_f64_e32 v[8:9], v[16:17], v[10:11]
	v_subrev_nc_u32_e32 v10, s8, v14
.LBB76_3:
	s_or_b32 exec_lo, exec_lo, s2
	v_dual_lshlrev_b32 v12, 2, v0 :: v_dual_lshlrev_b32 v11, 4, v0
	s_mov_b32 s2, exec_lo
	ds_store_b32 v12, v10 offset:4096
	ds_store_b128 v11, v[6:9]
	v_or_b32_e32 v1, 0x1000, v12
	s_wait_dscnt 0x0
	s_barrier_signal -1
	s_barrier_wait -1
	v_cmpx_ne_u32_e32 0, v0
	s_cbranch_execz .LBB76_7
; %bb.4:
	v_add_nc_u32_e32 v12, -4, v1
	s_mov_b32 s3, exec_lo
	ds_load_b32 v12, v12
	s_wait_dscnt 0x0
	v_cmpx_eq_u32_e64 v10, v12
	s_cbranch_execz .LBB76_6
; %bb.5:
	v_add_nc_u32_e32 v12, -16, v11
	ds_load_b128 v[12:15], v12
	s_wait_dscnt 0x0
	v_add_f64_e32 v[6:7], v[6:7], v[12:13]
	v_add_f64_e32 v[8:9], v[8:9], v[14:15]
.LBB76_6:
	s_or_b32 exec_lo, exec_lo, s3
.LBB76_7:
	s_delay_alu instid0(SALU_CYCLE_1) | instskip(NEXT) | instid1(SALU_CYCLE_1)
	s_or_b32 exec_lo, exec_lo, s2
	s_mov_b32 s2, exec_lo
	s_barrier_signal -1
	s_barrier_wait -1
	ds_store_b128 v11, v[6:9]
	s_wait_dscnt 0x0
	s_barrier_signal -1
	s_barrier_wait -1
	v_cmpx_lt_u32_e32 1, v0
	s_cbranch_execz .LBB76_11
; %bb.8:
	v_add_nc_u32_e32 v12, -8, v1
	s_mov_b32 s3, exec_lo
	ds_load_b32 v12, v12
	s_wait_dscnt 0x0
	v_cmpx_eq_u32_e64 v10, v12
	s_cbranch_execz .LBB76_10
; %bb.9:
	v_subrev_nc_u32_e32 v12, 32, v11
	ds_load_b128 v[12:15], v12
	s_wait_dscnt 0x0
	v_add_f64_e32 v[6:7], v[6:7], v[12:13]
	v_add_f64_e32 v[8:9], v[8:9], v[14:15]
.LBB76_10:
	s_or_b32 exec_lo, exec_lo, s3
.LBB76_11:
	s_delay_alu instid0(SALU_CYCLE_1) | instskip(NEXT) | instid1(SALU_CYCLE_1)
	s_or_b32 exec_lo, exec_lo, s2
	s_mov_b32 s2, exec_lo
	s_barrier_signal -1
	s_barrier_wait -1
	ds_store_b128 v11, v[6:9]
	s_wait_dscnt 0x0
	s_barrier_signal -1
	s_barrier_wait -1
	v_cmpx_lt_u32_e32 3, v0
	s_cbranch_execz .LBB76_15
; %bb.12:
	v_add_nc_u32_e32 v12, -16, v1
	s_mov_b32 s3, exec_lo
	ds_load_b32 v12, v12
	s_wait_dscnt 0x0
	v_cmpx_eq_u32_e64 v10, v12
	s_cbranch_execz .LBB76_14
; %bb.13:
	v_subrev_nc_u32_e32 v12, 64, v11
	ds_load_b128 v[12:15], v12
	s_wait_dscnt 0x0
	v_add_f64_e32 v[6:7], v[6:7], v[12:13]
	v_add_f64_e32 v[8:9], v[8:9], v[14:15]
.LBB76_14:
	s_or_b32 exec_lo, exec_lo, s3
.LBB76_15:
	s_delay_alu instid0(SALU_CYCLE_1) | instskip(NEXT) | instid1(SALU_CYCLE_1)
	s_or_b32 exec_lo, exec_lo, s2
	s_mov_b32 s2, exec_lo
	s_barrier_signal -1
	s_barrier_wait -1
	ds_store_b128 v11, v[6:9]
	s_wait_dscnt 0x0
	s_barrier_signal -1
	s_barrier_wait -1
	v_cmpx_lt_u32_e32 7, v0
	s_cbranch_execz .LBB76_19
; %bb.16:
	v_subrev_nc_u32_e32 v12, 32, v1
	s_mov_b32 s3, exec_lo
	ds_load_b32 v12, v12
	s_wait_dscnt 0x0
	v_cmpx_eq_u32_e64 v10, v12
	s_cbranch_execz .LBB76_18
; %bb.17:
	v_add_nc_u32_e32 v12, 0xffffff80, v11
	ds_load_b128 v[12:15], v12
	s_wait_dscnt 0x0
	v_add_f64_e32 v[6:7], v[6:7], v[12:13]
	v_add_f64_e32 v[8:9], v[8:9], v[14:15]
.LBB76_18:
	s_or_b32 exec_lo, exec_lo, s3
.LBB76_19:
	s_delay_alu instid0(SALU_CYCLE_1) | instskip(NEXT) | instid1(SALU_CYCLE_1)
	s_or_b32 exec_lo, exec_lo, s2
	s_mov_b32 s2, exec_lo
	s_barrier_signal -1
	s_barrier_wait -1
	ds_store_b128 v11, v[6:9]
	s_wait_dscnt 0x0
	s_barrier_signal -1
	s_barrier_wait -1
	v_cmpx_lt_u32_e32 15, v0
	s_cbranch_execz .LBB76_23
; %bb.20:
	v_subrev_nc_u32_e32 v12, 64, v1
	s_mov_b32 s3, exec_lo
	ds_load_b32 v12, v12
	s_wait_dscnt 0x0
	v_cmpx_eq_u32_e64 v10, v12
	s_cbranch_execz .LBB76_22
; %bb.21:
	v_add_nc_u32_e32 v12, 0xffffff00, v11
	ds_load_b128 v[12:15], v12
	s_wait_dscnt 0x0
	v_add_f64_e32 v[6:7], v[6:7], v[12:13]
	v_add_f64_e32 v[8:9], v[8:9], v[14:15]
.LBB76_22:
	s_or_b32 exec_lo, exec_lo, s3
.LBB76_23:
	s_delay_alu instid0(SALU_CYCLE_1) | instskip(NEXT) | instid1(SALU_CYCLE_1)
	s_or_b32 exec_lo, exec_lo, s2
	s_mov_b32 s2, exec_lo
	s_barrier_signal -1
	s_barrier_wait -1
	ds_store_b128 v11, v[6:9]
	s_wait_dscnt 0x0
	s_barrier_signal -1
	s_barrier_wait -1
	v_cmpx_lt_u32_e32 31, v0
	s_cbranch_execz .LBB76_27
; %bb.24:
	v_add_nc_u32_e32 v12, 0xffffff80, v1
	s_mov_b32 s3, exec_lo
	ds_load_b32 v12, v12
	s_wait_dscnt 0x0
	v_cmpx_eq_u32_e64 v10, v12
	s_cbranch_execz .LBB76_26
; %bb.25:
	v_add_nc_u32_e32 v12, 0xfffffe00, v11
	ds_load_b128 v[12:15], v12
	s_wait_dscnt 0x0
	v_add_f64_e32 v[6:7], v[6:7], v[12:13]
	v_add_f64_e32 v[8:9], v[8:9], v[14:15]
.LBB76_26:
	s_or_b32 exec_lo, exec_lo, s3
.LBB76_27:
	s_delay_alu instid0(SALU_CYCLE_1) | instskip(NEXT) | instid1(SALU_CYCLE_1)
	s_or_b32 exec_lo, exec_lo, s2
	s_mov_b32 s2, exec_lo
	s_barrier_signal -1
	s_barrier_wait -1
	ds_store_b128 v11, v[6:9]
	s_wait_dscnt 0x0
	s_barrier_signal -1
	s_barrier_wait -1
	v_cmpx_lt_u32_e32 63, v0
	s_cbranch_execz .LBB76_31
; %bb.28:
	v_add_nc_u32_e32 v12, 0xffffff00, v1
	s_mov_b32 s3, exec_lo
	ds_load_b32 v12, v12
	s_wait_dscnt 0x0
	v_cmpx_eq_u32_e64 v10, v12
	s_cbranch_execz .LBB76_30
; %bb.29:
	v_add_nc_u32_e32 v12, 0xfffffc00, v11
	ds_load_b128 v[12:15], v12
	s_wait_dscnt 0x0
	v_add_f64_e32 v[6:7], v[6:7], v[12:13]
	v_add_f64_e32 v[8:9], v[8:9], v[14:15]
.LBB76_30:
	s_or_b32 exec_lo, exec_lo, s3
.LBB76_31:
	s_delay_alu instid0(SALU_CYCLE_1)
	s_or_b32 exec_lo, exec_lo, s2
	s_load_b64 s[2:3], s[0:1], 0x30
	s_wait_xcnt 0x0
	s_mov_b32 s0, exec_lo
	s_barrier_signal -1
	s_barrier_wait -1
	ds_store_b128 v11, v[6:9]
	s_wait_dscnt 0x0
	s_barrier_signal -1
	s_barrier_wait -1
	v_cmpx_lt_u32_e32 0x7f, v0
	s_cbranch_execz .LBB76_35
; %bb.32:
	v_add_nc_u32_e32 v12, 0xfffffe00, v1
	s_mov_b32 s1, exec_lo
	ds_load_b32 v12, v12
	s_wait_dscnt 0x0
	v_cmpx_eq_u32_e64 v10, v12
	s_cbranch_execz .LBB76_34
; %bb.33:
	v_add_nc_u32_e32 v12, 0xfffff800, v11
	ds_load_b128 v[12:15], v12
	s_wait_dscnt 0x0
	v_add_f64_e32 v[6:7], v[6:7], v[12:13]
	v_add_f64_e32 v[8:9], v[8:9], v[14:15]
.LBB76_34:
	s_or_b32 exec_lo, exec_lo, s1
.LBB76_35:
	s_delay_alu instid0(SALU_CYCLE_1) | instskip(NEXT) | instid1(SALU_CYCLE_1)
	s_or_b32 exec_lo, exec_lo, s0
	s_mov_b32 s1, exec_lo
	s_barrier_signal -1
	s_barrier_wait -1
	ds_store_b128 v11, v[6:9]
	s_wait_dscnt 0x0
	s_barrier_signal -1
	s_barrier_wait -1
	v_cmpx_gt_u32_e32 0xff, v0
	s_cbranch_execz .LBB76_38
; %bb.36:
	ds_load_b32 v1, v1 offset:4
	v_cmp_lt_i32_e64 s0, -1, v10
	s_wait_dscnt 0x0
	v_cmp_ne_u32_e32 vcc_lo, v10, v1
	s_and_b32 s0, s0, vcc_lo
	s_delay_alu instid0(SALU_CYCLE_1)
	s_and_b32 exec_lo, exec_lo, s0
	s_cbranch_execz .LBB76_38
; %bb.37:
	v_dual_mul_f64 v[12:13], v[8:9], -v[4:5] :: v_dual_mov_b32 v11, 0
	v_mul_f64_e32 v[14:15], v[2:3], v[8:9]
	s_wait_kmcnt 0x0
	s_delay_alu instid0(VALU_DEP_2) | instskip(NEXT) | instid1(VALU_DEP_3)
	v_lshl_add_u64 v[16:17], v[10:11], 4, s[2:3]
	v_fmac_f64_e32 v[12:13], v[2:3], v[6:7]
	s_delay_alu instid0(VALU_DEP_3)
	v_fmac_f64_e32 v[14:15], v[4:5], v[6:7]
	global_atomic_add_f64 v[16:17], v[12:13], off scope:SCOPE_DEV
	s_wait_xcnt 0x0
	global_atomic_add_f64 v[16:17], v[14:15], off offset:8 scope:SCOPE_DEV
.LBB76_38:
	s_wait_xcnt 0x0
	s_or_b32 exec_lo, exec_lo, s1
	v_cmp_eq_u32_e32 vcc_lo, 0xff, v0
	v_cmp_lt_i32_e64 s0, -1, v10
	s_and_b32 s0, vcc_lo, s0
	s_delay_alu instid0(SALU_CYCLE_1)
	s_and_b32 exec_lo, exec_lo, s0
	s_cbranch_execz .LBB76_40
; %bb.39:
	v_dual_mul_f64 v[0:1], v[8:9], -v[4:5] :: v_dual_mov_b32 v11, 0
	v_mul_f64_e32 v[8:9], v[2:3], v[8:9]
	s_delay_alu instid0(VALU_DEP_2) | instskip(SKIP_1) | instid1(VALU_DEP_3)
	v_fmac_f64_e32 v[0:1], v[2:3], v[6:7]
	s_wait_kmcnt 0x0
	v_lshl_add_u64 v[2:3], v[10:11], 4, s[2:3]
	s_delay_alu instid0(VALU_DEP_3)
	v_fmac_f64_e32 v[8:9], v[4:5], v[6:7]
	global_atomic_add_f64 v[2:3], v[0:1], off scope:SCOPE_DEV
	s_wait_xcnt 0x0
	global_atomic_add_f64 v[2:3], v[8:9], off offset:8 scope:SCOPE_DEV
.LBB76_40:
	s_endpgm
	.section	.rodata,"a",@progbits
	.p2align	6, 0x0
	.amdhsa_kernel _ZN9rocsparseL23coomvn_aos_atomic_loopsILj256ELj1Ei21rocsparse_complex_numIfES1_IdES3_S3_EEvlNS_24const_host_device_scalarIT5_EEPKT1_PKT2_PKT3_PT4_21rocsparse_index_base_b
		.amdhsa_group_segment_fixed_size 5120
		.amdhsa_private_segment_fixed_size 0
		.amdhsa_kernarg_size 64
		.amdhsa_user_sgpr_count 2
		.amdhsa_user_sgpr_dispatch_ptr 0
		.amdhsa_user_sgpr_queue_ptr 0
		.amdhsa_user_sgpr_kernarg_segment_ptr 1
		.amdhsa_user_sgpr_dispatch_id 0
		.amdhsa_user_sgpr_kernarg_preload_length 0
		.amdhsa_user_sgpr_kernarg_preload_offset 0
		.amdhsa_user_sgpr_private_segment_size 0
		.amdhsa_wavefront_size32 1
		.amdhsa_uses_dynamic_stack 0
		.amdhsa_enable_private_segment 0
		.amdhsa_system_sgpr_workgroup_id_x 1
		.amdhsa_system_sgpr_workgroup_id_y 0
		.amdhsa_system_sgpr_workgroup_id_z 0
		.amdhsa_system_sgpr_workgroup_info 0
		.amdhsa_system_vgpr_workitem_id 0
		.amdhsa_next_free_vgpr 20
		.amdhsa_next_free_sgpr 12
		.amdhsa_named_barrier_count 0
		.amdhsa_reserve_vcc 1
		.amdhsa_float_round_mode_32 0
		.amdhsa_float_round_mode_16_64 0
		.amdhsa_float_denorm_mode_32 3
		.amdhsa_float_denorm_mode_16_64 3
		.amdhsa_fp16_overflow 0
		.amdhsa_memory_ordered 1
		.amdhsa_forward_progress 1
		.amdhsa_inst_pref_size 12
		.amdhsa_round_robin_scheduling 0
		.amdhsa_exception_fp_ieee_invalid_op 0
		.amdhsa_exception_fp_denorm_src 0
		.amdhsa_exception_fp_ieee_div_zero 0
		.amdhsa_exception_fp_ieee_overflow 0
		.amdhsa_exception_fp_ieee_underflow 0
		.amdhsa_exception_fp_ieee_inexact 0
		.amdhsa_exception_int_div_zero 0
	.end_amdhsa_kernel
	.section	.text._ZN9rocsparseL23coomvn_aos_atomic_loopsILj256ELj1Ei21rocsparse_complex_numIfES1_IdES3_S3_EEvlNS_24const_host_device_scalarIT5_EEPKT1_PKT2_PKT3_PT4_21rocsparse_index_base_b,"axG",@progbits,_ZN9rocsparseL23coomvn_aos_atomic_loopsILj256ELj1Ei21rocsparse_complex_numIfES1_IdES3_S3_EEvlNS_24const_host_device_scalarIT5_EEPKT1_PKT2_PKT3_PT4_21rocsparse_index_base_b,comdat
.Lfunc_end76:
	.size	_ZN9rocsparseL23coomvn_aos_atomic_loopsILj256ELj1Ei21rocsparse_complex_numIfES1_IdES3_S3_EEvlNS_24const_host_device_scalarIT5_EEPKT1_PKT2_PKT3_PT4_21rocsparse_index_base_b, .Lfunc_end76-_ZN9rocsparseL23coomvn_aos_atomic_loopsILj256ELj1Ei21rocsparse_complex_numIfES1_IdES3_S3_EEvlNS_24const_host_device_scalarIT5_EEPKT1_PKT2_PKT3_PT4_21rocsparse_index_base_b
                                        ; -- End function
	.set _ZN9rocsparseL23coomvn_aos_atomic_loopsILj256ELj1Ei21rocsparse_complex_numIfES1_IdES3_S3_EEvlNS_24const_host_device_scalarIT5_EEPKT1_PKT2_PKT3_PT4_21rocsparse_index_base_b.num_vgpr, 20
	.set _ZN9rocsparseL23coomvn_aos_atomic_loopsILj256ELj1Ei21rocsparse_complex_numIfES1_IdES3_S3_EEvlNS_24const_host_device_scalarIT5_EEPKT1_PKT2_PKT3_PT4_21rocsparse_index_base_b.num_agpr, 0
	.set _ZN9rocsparseL23coomvn_aos_atomic_loopsILj256ELj1Ei21rocsparse_complex_numIfES1_IdES3_S3_EEvlNS_24const_host_device_scalarIT5_EEPKT1_PKT2_PKT3_PT4_21rocsparse_index_base_b.numbered_sgpr, 12
	.set _ZN9rocsparseL23coomvn_aos_atomic_loopsILj256ELj1Ei21rocsparse_complex_numIfES1_IdES3_S3_EEvlNS_24const_host_device_scalarIT5_EEPKT1_PKT2_PKT3_PT4_21rocsparse_index_base_b.num_named_barrier, 0
	.set _ZN9rocsparseL23coomvn_aos_atomic_loopsILj256ELj1Ei21rocsparse_complex_numIfES1_IdES3_S3_EEvlNS_24const_host_device_scalarIT5_EEPKT1_PKT2_PKT3_PT4_21rocsparse_index_base_b.private_seg_size, 0
	.set _ZN9rocsparseL23coomvn_aos_atomic_loopsILj256ELj1Ei21rocsparse_complex_numIfES1_IdES3_S3_EEvlNS_24const_host_device_scalarIT5_EEPKT1_PKT2_PKT3_PT4_21rocsparse_index_base_b.uses_vcc, 1
	.set _ZN9rocsparseL23coomvn_aos_atomic_loopsILj256ELj1Ei21rocsparse_complex_numIfES1_IdES3_S3_EEvlNS_24const_host_device_scalarIT5_EEPKT1_PKT2_PKT3_PT4_21rocsparse_index_base_b.uses_flat_scratch, 0
	.set _ZN9rocsparseL23coomvn_aos_atomic_loopsILj256ELj1Ei21rocsparse_complex_numIfES1_IdES3_S3_EEvlNS_24const_host_device_scalarIT5_EEPKT1_PKT2_PKT3_PT4_21rocsparse_index_base_b.has_dyn_sized_stack, 0
	.set _ZN9rocsparseL23coomvn_aos_atomic_loopsILj256ELj1Ei21rocsparse_complex_numIfES1_IdES3_S3_EEvlNS_24const_host_device_scalarIT5_EEPKT1_PKT2_PKT3_PT4_21rocsparse_index_base_b.has_recursion, 0
	.set _ZN9rocsparseL23coomvn_aos_atomic_loopsILj256ELj1Ei21rocsparse_complex_numIfES1_IdES3_S3_EEvlNS_24const_host_device_scalarIT5_EEPKT1_PKT2_PKT3_PT4_21rocsparse_index_base_b.has_indirect_call, 0
	.section	.AMDGPU.csdata,"",@progbits
; Kernel info:
; codeLenInByte = 1500
; TotalNumSgprs: 14
; NumVgprs: 20
; ScratchSize: 0
; MemoryBound: 0
; FloatMode: 240
; IeeeMode: 1
; LDSByteSize: 5120 bytes/workgroup (compile time only)
; SGPRBlocks: 0
; VGPRBlocks: 1
; NumSGPRsForWavesPerEU: 14
; NumVGPRsForWavesPerEU: 20
; NamedBarCnt: 0
; Occupancy: 16
; WaveLimiterHint : 1
; COMPUTE_PGM_RSRC2:SCRATCH_EN: 0
; COMPUTE_PGM_RSRC2:USER_SGPR: 2
; COMPUTE_PGM_RSRC2:TRAP_HANDLER: 0
; COMPUTE_PGM_RSRC2:TGID_X_EN: 1
; COMPUTE_PGM_RSRC2:TGID_Y_EN: 0
; COMPUTE_PGM_RSRC2:TGID_Z_EN: 0
; COMPUTE_PGM_RSRC2:TIDIG_COMP_CNT: 0
	.section	.text._ZN9rocsparseL17coomvt_aos_kernelILj1024Ei21rocsparse_complex_numIfES1_IdES3_S3_EEv20rocsparse_operation_lNS_24const_host_device_scalarIT4_EEPKT0_PKT1_PKT2_PT3_21rocsparse_index_base_b,"axG",@progbits,_ZN9rocsparseL17coomvt_aos_kernelILj1024Ei21rocsparse_complex_numIfES1_IdES3_S3_EEv20rocsparse_operation_lNS_24const_host_device_scalarIT4_EEPKT0_PKT1_PKT2_PT3_21rocsparse_index_base_b,comdat
	.globl	_ZN9rocsparseL17coomvt_aos_kernelILj1024Ei21rocsparse_complex_numIfES1_IdES3_S3_EEv20rocsparse_operation_lNS_24const_host_device_scalarIT4_EEPKT0_PKT1_PKT2_PT3_21rocsparse_index_base_b ; -- Begin function _ZN9rocsparseL17coomvt_aos_kernelILj1024Ei21rocsparse_complex_numIfES1_IdES3_S3_EEv20rocsparse_operation_lNS_24const_host_device_scalarIT4_EEPKT0_PKT1_PKT2_PT3_21rocsparse_index_base_b
	.p2align	8
	.type	_ZN9rocsparseL17coomvt_aos_kernelILj1024Ei21rocsparse_complex_numIfES1_IdES3_S3_EEv20rocsparse_operation_lNS_24const_host_device_scalarIT4_EEPKT0_PKT1_PKT2_PT3_21rocsparse_index_base_b,@function
_ZN9rocsparseL17coomvt_aos_kernelILj1024Ei21rocsparse_complex_numIfES1_IdES3_S3_EEv20rocsparse_operation_lNS_24const_host_device_scalarIT4_EEPKT0_PKT1_PKT2_PT3_21rocsparse_index_base_b: ; @_ZN9rocsparseL17coomvt_aos_kernelILj1024Ei21rocsparse_complex_numIfES1_IdES3_S3_EEv20rocsparse_operation_lNS_24const_host_device_scalarIT4_EEPKT0_PKT1_PKT2_PT3_21rocsparse_index_base_b
; %bb.0:
	s_clause 0x1
	s_load_b64 s[12:13], s[0:1], 0x40
	s_load_b128 s[4:7], s[0:1], 0x8
	v_mov_b32_e32 v1, 0
	s_add_nc_u64 s[2:3], s[0:1], 16
	s_wait_kmcnt 0x0
	s_bitcmp1_b32 s13, 0
	s_cselect_b32 s3, s3, s7
	s_cselect_b32 s2, s2, s6
	flat_load_b128 v[2:5], v1, s[2:3]
	s_wait_loadcnt_dscnt 0x0
	v_cmp_neq_f64_e32 vcc_lo, 0, v[2:3]
	v_cmp_neq_f64_e64 s2, 0, v[4:5]
	s_or_b32 s2, vcc_lo, s2
	s_delay_alu instid0(SALU_CYCLE_1)
	s_and_saveexec_b32 s3, s2
	s_cbranch_execz .LBB77_3
; %bb.1:
	s_load_b32 s2, s[0:1], 0x54
	s_bfe_u32 s3, ttmp6, 0x4000c
	s_and_b32 s6, ttmp6, 15
	s_add_co_i32 s3, s3, 1
	s_getreg_b32 s7, hwreg(HW_REG_IB_STS2, 6, 4)
	s_mul_i32 s3, ttmp9, s3
	s_delay_alu instid0(SALU_CYCLE_1) | instskip(SKIP_4) | instid1(SALU_CYCLE_1)
	s_add_co_i32 s6, s6, s3
	s_wait_kmcnt 0x0
	s_and_b32 s2, s2, 0xffff
	s_cmp_eq_u32 s7, 0
	s_cselect_b32 s3, ttmp9, s6
	v_mad_u32 v0, s3, s2, v0
	s_delay_alu instid0(VALU_DEP_1)
	v_cmp_gt_i64_e32 vcc_lo, s[4:5], v[0:1]
	s_and_b32 exec_lo, exec_lo, vcc_lo
	s_cbranch_execz .LBB77_3
; %bb.2:
	s_load_b256 s[4:11], s[0:1], 0x20
	v_lshlrev_b64_e32 v[0:1], 3, v[0:1]
	s_wait_xcnt 0x0
	s_load_b32 s0, s[0:1], 0x0
	s_wait_kmcnt 0x0
	s_delay_alu instid0(VALU_DEP_1)
	v_add_nc_u64_e32 v[6:7], s[4:5], v[0:1]
	v_add_nc_u64_e32 v[0:1], s[6:7], v[0:1]
	s_cmp_eq_u32 s0, 0x71
	s_cselect_b32 s0, -1, 0
	global_load_b64 v[10:11], v[6:7], off
	global_load_b64 v[0:1], v[0:1], off
	s_wait_loadcnt 0x1
	s_wait_xcnt 0x1
	v_subrev_nc_u32_e32 v6, s12, v10
	s_wait_loadcnt 0x0
	v_cndmask_b32_e64 v1, v1, -v1, s0
	global_load_b128 v[6:9], v6, s[8:9] scale_offset
	v_cvt_f64_f32_e32 v[12:13], v1
	v_cvt_f64_f32_e32 v[0:1], v0
	s_delay_alu instid0(VALU_DEP_2) | instskip(SKIP_1) | instid1(VALU_DEP_2)
	v_mul_f64_e32 v[14:15], v[2:3], v[12:13]
	v_mul_f64_e64 v[12:13], -v[4:5], v[12:13]
	v_fmac_f64_e32 v[14:15], v[4:5], v[0:1]
	s_delay_alu instid0(VALU_DEP_2) | instskip(SKIP_1) | instid1(VALU_DEP_1)
	v_fmac_f64_e32 v[12:13], v[2:3], v[0:1]
	v_subrev_nc_u32_e32 v4, s12, v11
	v_ashrrev_i32_e32 v5, 31, v4
	s_delay_alu instid0(VALU_DEP_1) | instskip(SKIP_3) | instid1(VALU_DEP_2)
	v_lshl_add_u64 v[4:5], v[4:5], 4, s[10:11]
	s_wait_loadcnt 0x0
	v_mul_f64_e64 v[0:1], v[8:9], -v[14:15]
	v_mul_f64_e32 v[2:3], v[8:9], v[12:13]
	v_fmac_f64_e32 v[0:1], v[12:13], v[6:7]
	s_delay_alu instid0(VALU_DEP_2)
	v_fmac_f64_e32 v[2:3], v[14:15], v[6:7]
	global_atomic_add_f64 v[4:5], v[0:1], off scope:SCOPE_DEV
	s_wait_xcnt 0x0
	global_atomic_add_f64 v[4:5], v[2:3], off offset:8 scope:SCOPE_DEV
.LBB77_3:
	s_endpgm
	.section	.rodata,"a",@progbits
	.p2align	6, 0x0
	.amdhsa_kernel _ZN9rocsparseL17coomvt_aos_kernelILj1024Ei21rocsparse_complex_numIfES1_IdES3_S3_EEv20rocsparse_operation_lNS_24const_host_device_scalarIT4_EEPKT0_PKT1_PKT2_PT3_21rocsparse_index_base_b
		.amdhsa_group_segment_fixed_size 0
		.amdhsa_private_segment_fixed_size 0
		.amdhsa_kernarg_size 328
		.amdhsa_user_sgpr_count 2
		.amdhsa_user_sgpr_dispatch_ptr 0
		.amdhsa_user_sgpr_queue_ptr 0
		.amdhsa_user_sgpr_kernarg_segment_ptr 1
		.amdhsa_user_sgpr_dispatch_id 0
		.amdhsa_user_sgpr_kernarg_preload_length 0
		.amdhsa_user_sgpr_kernarg_preload_offset 0
		.amdhsa_user_sgpr_private_segment_size 0
		.amdhsa_wavefront_size32 1
		.amdhsa_uses_dynamic_stack 0
		.amdhsa_enable_private_segment 0
		.amdhsa_system_sgpr_workgroup_id_x 1
		.amdhsa_system_sgpr_workgroup_id_y 0
		.amdhsa_system_sgpr_workgroup_id_z 0
		.amdhsa_system_sgpr_workgroup_info 0
		.amdhsa_system_vgpr_workitem_id 0
		.amdhsa_next_free_vgpr 16
		.amdhsa_next_free_sgpr 14
		.amdhsa_named_barrier_count 0
		.amdhsa_reserve_vcc 1
		.amdhsa_float_round_mode_32 0
		.amdhsa_float_round_mode_16_64 0
		.amdhsa_float_denorm_mode_32 3
		.amdhsa_float_denorm_mode_16_64 3
		.amdhsa_fp16_overflow 0
		.amdhsa_memory_ordered 1
		.amdhsa_forward_progress 1
		.amdhsa_inst_pref_size 4
		.amdhsa_round_robin_scheduling 0
		.amdhsa_exception_fp_ieee_invalid_op 0
		.amdhsa_exception_fp_denorm_src 0
		.amdhsa_exception_fp_ieee_div_zero 0
		.amdhsa_exception_fp_ieee_overflow 0
		.amdhsa_exception_fp_ieee_underflow 0
		.amdhsa_exception_fp_ieee_inexact 0
		.amdhsa_exception_int_div_zero 0
	.end_amdhsa_kernel
	.section	.text._ZN9rocsparseL17coomvt_aos_kernelILj1024Ei21rocsparse_complex_numIfES1_IdES3_S3_EEv20rocsparse_operation_lNS_24const_host_device_scalarIT4_EEPKT0_PKT1_PKT2_PT3_21rocsparse_index_base_b,"axG",@progbits,_ZN9rocsparseL17coomvt_aos_kernelILj1024Ei21rocsparse_complex_numIfES1_IdES3_S3_EEv20rocsparse_operation_lNS_24const_host_device_scalarIT4_EEPKT0_PKT1_PKT2_PT3_21rocsparse_index_base_b,comdat
.Lfunc_end77:
	.size	_ZN9rocsparseL17coomvt_aos_kernelILj1024Ei21rocsparse_complex_numIfES1_IdES3_S3_EEv20rocsparse_operation_lNS_24const_host_device_scalarIT4_EEPKT0_PKT1_PKT2_PT3_21rocsparse_index_base_b, .Lfunc_end77-_ZN9rocsparseL17coomvt_aos_kernelILj1024Ei21rocsparse_complex_numIfES1_IdES3_S3_EEv20rocsparse_operation_lNS_24const_host_device_scalarIT4_EEPKT0_PKT1_PKT2_PT3_21rocsparse_index_base_b
                                        ; -- End function
	.set _ZN9rocsparseL17coomvt_aos_kernelILj1024Ei21rocsparse_complex_numIfES1_IdES3_S3_EEv20rocsparse_operation_lNS_24const_host_device_scalarIT4_EEPKT0_PKT1_PKT2_PT3_21rocsparse_index_base_b.num_vgpr, 16
	.set _ZN9rocsparseL17coomvt_aos_kernelILj1024Ei21rocsparse_complex_numIfES1_IdES3_S3_EEv20rocsparse_operation_lNS_24const_host_device_scalarIT4_EEPKT0_PKT1_PKT2_PT3_21rocsparse_index_base_b.num_agpr, 0
	.set _ZN9rocsparseL17coomvt_aos_kernelILj1024Ei21rocsparse_complex_numIfES1_IdES3_S3_EEv20rocsparse_operation_lNS_24const_host_device_scalarIT4_EEPKT0_PKT1_PKT2_PT3_21rocsparse_index_base_b.numbered_sgpr, 14
	.set _ZN9rocsparseL17coomvt_aos_kernelILj1024Ei21rocsparse_complex_numIfES1_IdES3_S3_EEv20rocsparse_operation_lNS_24const_host_device_scalarIT4_EEPKT0_PKT1_PKT2_PT3_21rocsparse_index_base_b.num_named_barrier, 0
	.set _ZN9rocsparseL17coomvt_aos_kernelILj1024Ei21rocsparse_complex_numIfES1_IdES3_S3_EEv20rocsparse_operation_lNS_24const_host_device_scalarIT4_EEPKT0_PKT1_PKT2_PT3_21rocsparse_index_base_b.private_seg_size, 0
	.set _ZN9rocsparseL17coomvt_aos_kernelILj1024Ei21rocsparse_complex_numIfES1_IdES3_S3_EEv20rocsparse_operation_lNS_24const_host_device_scalarIT4_EEPKT0_PKT1_PKT2_PT3_21rocsparse_index_base_b.uses_vcc, 1
	.set _ZN9rocsparseL17coomvt_aos_kernelILj1024Ei21rocsparse_complex_numIfES1_IdES3_S3_EEv20rocsparse_operation_lNS_24const_host_device_scalarIT4_EEPKT0_PKT1_PKT2_PT3_21rocsparse_index_base_b.uses_flat_scratch, 0
	.set _ZN9rocsparseL17coomvt_aos_kernelILj1024Ei21rocsparse_complex_numIfES1_IdES3_S3_EEv20rocsparse_operation_lNS_24const_host_device_scalarIT4_EEPKT0_PKT1_PKT2_PT3_21rocsparse_index_base_b.has_dyn_sized_stack, 0
	.set _ZN9rocsparseL17coomvt_aos_kernelILj1024Ei21rocsparse_complex_numIfES1_IdES3_S3_EEv20rocsparse_operation_lNS_24const_host_device_scalarIT4_EEPKT0_PKT1_PKT2_PT3_21rocsparse_index_base_b.has_recursion, 0
	.set _ZN9rocsparseL17coomvt_aos_kernelILj1024Ei21rocsparse_complex_numIfES1_IdES3_S3_EEv20rocsparse_operation_lNS_24const_host_device_scalarIT4_EEPKT0_PKT1_PKT2_PT3_21rocsparse_index_base_b.has_indirect_call, 0
	.section	.AMDGPU.csdata,"",@progbits
; Kernel info:
; codeLenInByte = 400
; TotalNumSgprs: 16
; NumVgprs: 16
; ScratchSize: 0
; MemoryBound: 0
; FloatMode: 240
; IeeeMode: 1
; LDSByteSize: 0 bytes/workgroup (compile time only)
; SGPRBlocks: 0
; VGPRBlocks: 0
; NumSGPRsForWavesPerEU: 16
; NumVGPRsForWavesPerEU: 16
; NamedBarCnt: 0
; Occupancy: 16
; WaveLimiterHint : 1
; COMPUTE_PGM_RSRC2:SCRATCH_EN: 0
; COMPUTE_PGM_RSRC2:USER_SGPR: 2
; COMPUTE_PGM_RSRC2:TRAP_HANDLER: 0
; COMPUTE_PGM_RSRC2:TGID_X_EN: 1
; COMPUTE_PGM_RSRC2:TGID_Y_EN: 0
; COMPUTE_PGM_RSRC2:TGID_Z_EN: 0
; COMPUTE_PGM_RSRC2:TIDIG_COMP_CNT: 0
	.section	.text._ZN9rocsparseL26coomvn_aos_segmented_loopsILj256Ei21rocsparse_complex_numIfES1_IdES3_S3_EEvlT0_NS_24const_host_device_scalarIT4_EEPKS4_PKT1_PKT2_PT3_PS4_PS6_21rocsparse_index_base_b,"axG",@progbits,_ZN9rocsparseL26coomvn_aos_segmented_loopsILj256Ei21rocsparse_complex_numIfES1_IdES3_S3_EEvlT0_NS_24const_host_device_scalarIT4_EEPKS4_PKT1_PKT2_PT3_PS4_PS6_21rocsparse_index_base_b,comdat
	.globl	_ZN9rocsparseL26coomvn_aos_segmented_loopsILj256Ei21rocsparse_complex_numIfES1_IdES3_S3_EEvlT0_NS_24const_host_device_scalarIT4_EEPKS4_PKT1_PKT2_PT3_PS4_PS6_21rocsparse_index_base_b ; -- Begin function _ZN9rocsparseL26coomvn_aos_segmented_loopsILj256Ei21rocsparse_complex_numIfES1_IdES3_S3_EEvlT0_NS_24const_host_device_scalarIT4_EEPKS4_PKT1_PKT2_PT3_PS4_PS6_21rocsparse_index_base_b
	.p2align	8
	.type	_ZN9rocsparseL26coomvn_aos_segmented_loopsILj256Ei21rocsparse_complex_numIfES1_IdES3_S3_EEvlT0_NS_24const_host_device_scalarIT4_EEPKS4_PKT1_PKT2_PT3_PS4_PS6_21rocsparse_index_base_b,@function
_ZN9rocsparseL26coomvn_aos_segmented_loopsILj256Ei21rocsparse_complex_numIfES1_IdES3_S3_EEvlT0_NS_24const_host_device_scalarIT4_EEPKS4_PKT1_PKT2_PT3_PS4_PS6_21rocsparse_index_base_b: ; @_ZN9rocsparseL26coomvn_aos_segmented_loopsILj256Ei21rocsparse_complex_numIfES1_IdES3_S3_EEvlT0_NS_24const_host_device_scalarIT4_EEPKS4_PKT1_PKT2_PT3_PS4_PS6_21rocsparse_index_base_b
; %bb.0:
	s_clause 0x1
	s_load_b64 s[24:25], s[0:1], 0x50
	s_load_b64 s[2:3], s[0:1], 0x10
	v_mov_b32_e32 v11, 0
	s_add_nc_u64 s[4:5], s[0:1], 16
	s_wait_kmcnt 0x0
	s_bitcmp1_b32 s25, 0
	s_cselect_b32 s3, s5, s3
	s_cselect_b32 s2, s4, s2
	flat_load_b128 v[2:5], v11, s[2:3]
	s_wait_loadcnt_dscnt 0x0
	v_cmp_neq_f64_e32 vcc_lo, 0, v[2:3]
	v_cmp_neq_f64_e64 s2, 0, v[4:5]
	s_or_b32 s2, vcc_lo, s2
	s_delay_alu instid0(SALU_CYCLE_1)
	s_and_saveexec_b32 s3, s2
	s_cbranch_execz .LBB78_87
; %bb.1:
	s_clause 0x2
	s_load_b96 s[20:22], s[0:1], 0x0
	s_load_b128 s[16:19], s[0:1], 0x20
	s_load_b64 s[28:29], s[0:1], 0x30
	s_bfe_u32 s2, ttmp6, 0x4000c
	s_and_b32 s3, ttmp6, 15
	s_add_co_i32 s2, s2, 1
	v_mov_b64_e32 v[6:7], 0
	s_mul_i32 s2, ttmp9, s2
	s_getreg_b32 s4, hwreg(HW_REG_IB_STS2, 6, 4)
	s_add_co_i32 s3, s3, s2
	s_cmp_eq_u32 s4, 0
	v_mov_b32_e32 v17, -1
	s_cselect_b32 s23, ttmp9, s3
	v_mov_b64_e32 v[8:9], v[6:7]
	s_wait_kmcnt 0x0
	s_mul_i32 s2, s23, s22
	s_delay_alu instid0(SALU_CYCLE_1) | instskip(SKIP_1) | instid1(VALU_DEP_1)
	v_lshl_or_b32 v10, s2, 8, v0
	s_mov_b32 s2, exec_lo
	v_cmpx_gt_i64_e64 s[20:21], v[10:11]
	s_cbranch_execz .LBB78_3
; %bb.2:
	v_lshlrev_b64_e32 v[6:7], 3, v[10:11]
	s_ashr_i32 s25, s24, 31
	s_delay_alu instid0(SALU_CYCLE_1) | instskip(NEXT) | instid1(VALU_DEP_1)
	s_lshl_b64 s[4:5], s[24:25], 4
	v_add_nc_u64_e32 v[8:9], s[16:17], v[6:7]
	v_add_nc_u64_e32 v[6:7], s[18:19], v[6:7]
	global_load_b64 v[16:17], v[8:9], off th:TH_LOAD_NT
	global_load_b64 v[6:7], v[6:7], off th:TH_LOAD_NT
	s_wait_loadcnt 0x1
	s_wait_xcnt 0x1
	v_dual_mov_b32 v8, v17 :: v_dual_ashrrev_i32 v9, 31, v17
	s_wait_loadcnt 0x0
	v_cvt_f64_f32_e32 v[18:19], v7
	v_cvt_f64_f32_e32 v[20:21], v6
	v_subrev_nc_u32_e32 v17, s24, v16
	v_lshl_add_u64 v[8:9], v[8:9], 4, s[28:29]
	s_delay_alu instid0(VALU_DEP_1) | instskip(SKIP_4) | instid1(VALU_DEP_2)
	v_sub_nc_u64_e64 v[8:9], v[8:9], s[4:5]
	global_load_b128 v[12:15], v[8:9], off
	s_wait_loadcnt 0x0
	v_mul_f64_e64 v[6:7], v[14:15], -v[18:19]
	v_mul_f64_e32 v[8:9], v[14:15], v[20:21]
	v_fmac_f64_e32 v[6:7], v[20:21], v[12:13]
	s_delay_alu instid0(VALU_DEP_2)
	v_fmac_f64_e32 v[8:9], v[18:19], v[12:13]
.LBB78_3:
	s_or_b32 exec_lo, exec_lo, s2
	v_dual_lshlrev_b32 v12, 2, v0 :: v_dual_lshlrev_b32 v1, 4, v0
	v_cmp_eq_u32_e64 s2, 0, v0
	v_cmp_ne_u32_e64 s3, 0, v0
	ds_store_b32 v12, v17 offset:4096
	ds_store_b128 v1, v[6:9]
	v_or_b32_e32 v16, 0x1000, v12
	s_wait_dscnt 0x0
	s_barrier_signal -1
	s_barrier_wait -1
	s_delay_alu instid0(VALU_DEP_1)
	v_add_nc_u32_e32 v18, -4, v16
	s_and_saveexec_b32 s4, s3
	s_cbranch_execz .LBB78_7
; %bb.4:
	ds_load_b32 v12, v18
	s_mov_b32 s5, exec_lo
	s_wait_dscnt 0x0
	v_cmpx_eq_u32_e64 v17, v12
	s_cbranch_execz .LBB78_6
; %bb.5:
	v_add_nc_u32_e32 v12, -16, v1
	ds_load_b128 v[12:15], v12
	s_wait_dscnt 0x0
	v_add_f64_e32 v[6:7], v[6:7], v[12:13]
	v_add_f64_e32 v[8:9], v[8:9], v[14:15]
.LBB78_6:
	s_or_b32 exec_lo, exec_lo, s5
.LBB78_7:
	s_delay_alu instid0(SALU_CYCLE_1)
	s_or_b32 exec_lo, exec_lo, s4
	v_cmp_lt_u32_e64 s4, 1, v0
	v_add_nc_u32_e32 v19, -8, v16
	s_barrier_signal -1
	s_barrier_wait -1
	ds_store_b128 v1, v[6:9]
	s_wait_dscnt 0x0
	s_barrier_signal -1
	s_barrier_wait -1
	s_and_saveexec_b32 s5, s4
	s_cbranch_execz .LBB78_11
; %bb.8:
	ds_load_b32 v12, v19
	s_mov_b32 s6, exec_lo
	s_wait_dscnt 0x0
	v_cmpx_eq_u32_e64 v17, v12
	s_cbranch_execz .LBB78_10
; %bb.9:
	v_subrev_nc_u32_e32 v12, 32, v1
	ds_load_b128 v[12:15], v12
	s_wait_dscnt 0x0
	v_add_f64_e32 v[6:7], v[6:7], v[12:13]
	v_add_f64_e32 v[8:9], v[8:9], v[14:15]
.LBB78_10:
	s_or_b32 exec_lo, exec_lo, s6
.LBB78_11:
	s_delay_alu instid0(SALU_CYCLE_1)
	s_or_b32 exec_lo, exec_lo, s5
	v_cmp_lt_u32_e64 s5, 3, v0
	v_add_nc_u32_e32 v20, -16, v16
	s_barrier_signal -1
	s_barrier_wait -1
	ds_store_b128 v1, v[6:9]
	s_wait_dscnt 0x0
	s_barrier_signal -1
	s_barrier_wait -1
	s_and_saveexec_b32 s6, s5
	s_cbranch_execz .LBB78_15
; %bb.12:
	ds_load_b32 v12, v20
	s_mov_b32 s7, exec_lo
	s_wait_dscnt 0x0
	v_cmpx_eq_u32_e64 v17, v12
	s_cbranch_execz .LBB78_14
; %bb.13:
	v_subrev_nc_u32_e32 v12, 64, v1
	ds_load_b128 v[12:15], v12
	s_wait_dscnt 0x0
	v_add_f64_e32 v[6:7], v[6:7], v[12:13]
	v_add_f64_e32 v[8:9], v[8:9], v[14:15]
.LBB78_14:
	s_or_b32 exec_lo, exec_lo, s7
.LBB78_15:
	s_delay_alu instid0(SALU_CYCLE_1)
	s_or_b32 exec_lo, exec_lo, s6
	v_cmp_lt_u32_e64 s6, 7, v0
	v_subrev_nc_u32_e32 v21, 32, v16
	s_barrier_signal -1
	s_barrier_wait -1
	ds_store_b128 v1, v[6:9]
	s_wait_dscnt 0x0
	s_barrier_signal -1
	s_barrier_wait -1
	s_and_saveexec_b32 s7, s6
	s_cbranch_execz .LBB78_19
; %bb.16:
	ds_load_b32 v12, v21
	s_mov_b32 s8, exec_lo
	s_wait_dscnt 0x0
	v_cmpx_eq_u32_e64 v17, v12
	s_cbranch_execz .LBB78_18
; %bb.17:
	v_add_nc_u32_e32 v12, 0xffffff80, v1
	ds_load_b128 v[12:15], v12
	s_wait_dscnt 0x0
	v_add_f64_e32 v[6:7], v[6:7], v[12:13]
	v_add_f64_e32 v[8:9], v[8:9], v[14:15]
.LBB78_18:
	s_or_b32 exec_lo, exec_lo, s8
.LBB78_19:
	s_delay_alu instid0(SALU_CYCLE_1)
	s_or_b32 exec_lo, exec_lo, s7
	v_cmp_lt_u32_e64 s7, 15, v0
	v_subrev_nc_u32_e32 v22, 64, v16
	s_barrier_signal -1
	s_barrier_wait -1
	ds_store_b128 v1, v[6:9]
	s_wait_dscnt 0x0
	s_barrier_signal -1
	s_barrier_wait -1
	s_and_saveexec_b32 s8, s7
	s_cbranch_execz .LBB78_23
; %bb.20:
	ds_load_b32 v12, v22
	s_mov_b32 s9, exec_lo
	s_wait_dscnt 0x0
	v_cmpx_eq_u32_e64 v17, v12
	s_cbranch_execz .LBB78_22
; %bb.21:
	v_add_nc_u32_e32 v12, 0xffffff00, v1
	ds_load_b128 v[12:15], v12
	s_wait_dscnt 0x0
	v_add_f64_e32 v[6:7], v[6:7], v[12:13]
	v_add_f64_e32 v[8:9], v[8:9], v[14:15]
.LBB78_22:
	s_or_b32 exec_lo, exec_lo, s9
.LBB78_23:
	s_delay_alu instid0(SALU_CYCLE_1)
	s_or_b32 exec_lo, exec_lo, s8
	v_cmp_lt_u32_e64 s8, 31, v0
	v_add_nc_u32_e32 v23, 0xffffff80, v16
	s_barrier_signal -1
	s_barrier_wait -1
	ds_store_b128 v1, v[6:9]
	s_wait_dscnt 0x0
	s_barrier_signal -1
	s_barrier_wait -1
	s_and_saveexec_b32 s9, s8
	s_cbranch_execz .LBB78_27
; %bb.24:
	ds_load_b32 v12, v23
	s_mov_b32 s10, exec_lo
	s_wait_dscnt 0x0
	v_cmpx_eq_u32_e64 v17, v12
	s_cbranch_execz .LBB78_26
; %bb.25:
	v_add_nc_u32_e32 v12, 0xfffffe00, v1
	ds_load_b128 v[12:15], v12
	s_wait_dscnt 0x0
	v_add_f64_e32 v[6:7], v[6:7], v[12:13]
	v_add_f64_e32 v[8:9], v[8:9], v[14:15]
.LBB78_26:
	s_or_b32 exec_lo, exec_lo, s10
.LBB78_27:
	s_delay_alu instid0(SALU_CYCLE_1)
	s_or_b32 exec_lo, exec_lo, s9
	v_cmp_lt_u32_e64 s9, 63, v0
	v_add_nc_u32_e32 v24, 0xffffff00, v16
	s_barrier_signal -1
	s_barrier_wait -1
	ds_store_b128 v1, v[6:9]
	s_wait_dscnt 0x0
	s_barrier_signal -1
	s_barrier_wait -1
	s_and_saveexec_b32 s10, s9
	s_cbranch_execz .LBB78_31
; %bb.28:
	ds_load_b32 v12, v24
	s_mov_b32 s11, exec_lo
	s_wait_dscnt 0x0
	v_cmpx_eq_u32_e64 v17, v12
	s_cbranch_execz .LBB78_30
; %bb.29:
	v_add_nc_u32_e32 v12, 0xfffffc00, v1
	ds_load_b128 v[12:15], v12
	s_wait_dscnt 0x0
	v_add_f64_e32 v[6:7], v[6:7], v[12:13]
	v_add_f64_e32 v[8:9], v[8:9], v[14:15]
.LBB78_30:
	s_or_b32 exec_lo, exec_lo, s11
.LBB78_31:
	s_delay_alu instid0(SALU_CYCLE_1)
	s_or_b32 exec_lo, exec_lo, s10
	s_load_b64 s[26:27], s[0:1], 0x38
	v_cmp_lt_u32_e64 s10, 0x7f, v0
	v_add_nc_u32_e32 v25, 0xfffffe00, v16
	s_barrier_signal -1
	s_barrier_wait -1
	ds_store_b128 v1, v[6:9]
	s_wait_dscnt 0x0
	s_barrier_signal -1
	s_barrier_wait -1
	s_and_saveexec_b32 s11, s10
	s_cbranch_execz .LBB78_35
; %bb.32:
	ds_load_b32 v12, v25
	s_mov_b32 s12, exec_lo
	s_wait_dscnt 0x0
	v_cmpx_eq_u32_e64 v17, v12
	s_cbranch_execz .LBB78_34
; %bb.33:
	v_add_nc_u32_e32 v12, 0xfffff800, v1
	ds_load_b128 v[12:15], v12
	s_wait_dscnt 0x0
	v_add_f64_e32 v[6:7], v[6:7], v[12:13]
	v_add_f64_e32 v[8:9], v[8:9], v[14:15]
.LBB78_34:
	s_or_b32 exec_lo, exec_lo, s12
.LBB78_35:
	s_delay_alu instid0(SALU_CYCLE_1)
	s_or_b32 exec_lo, exec_lo, s11
	v_cmp_gt_u32_e64 s11, 0xff, v0
	s_barrier_signal -1
	s_barrier_wait -1
	ds_store_b128 v1, v[6:9]
	s_wait_dscnt 0x0
	s_barrier_signal -1
	s_barrier_wait -1
	s_and_saveexec_b32 s13, s11
	s_cbranch_execz .LBB78_38
; %bb.36:
	ds_load_b32 v12, v16 offset:4
	v_cmp_lt_i32_e64 s12, -1, v17
	s_wait_dscnt 0x0
	v_cmp_ne_u32_e32 vcc_lo, v17, v12
	s_and_b32 s12, s12, vcc_lo
	s_delay_alu instid0(SALU_CYCLE_1)
	s_and_b32 exec_lo, exec_lo, s12
	s_cbranch_execz .LBB78_38
; %bb.37:
	s_wait_kmcnt 0x0
	global_load_b128 v[12:15], v17, s[26:27] scale_offset
	s_wait_loadcnt 0x0
	v_fmac_f64_e32 v[12:13], v[2:3], v[6:7]
	v_fmac_f64_e32 v[14:15], v[4:5], v[6:7]
	s_delay_alu instid0(VALU_DEP_2) | instskip(NEXT) | instid1(VALU_DEP_2)
	v_fma_f64 v[12:13], -v[4:5], v[8:9], v[12:13]
	v_fmac_f64_e32 v[14:15], v[2:3], v[8:9]
	global_store_b128 v17, v[12:15], s[26:27] scale_offset
.LBB78_38:
	s_wait_xcnt 0x0
	s_or_b32 exec_lo, exec_lo, s13
	s_load_b128 s[12:15], s[0:1], 0x40
	s_cmp_lt_i32 s22, 2
	s_cbranch_scc1 .LBB78_85
; %bb.39:
	v_lshl_add_u64 v[6:7], v[10:11], 3, 0x800
	v_add_nc_u64_e32 v[10:11], 0x100, v[10:11]
	s_ashr_i32 s25, s24, 31
	v_dual_add_nc_u32 v26, -16, v1 :: v_dual_mov_b32 v34, 0
	s_delay_alu instid0(VALU_DEP_3)
	v_add_nc_u64_e32 v[12:13], s[18:19], v[6:7]
	v_add_nc_u64_e32 v[14:15], s[16:17], v[6:7]
	v_subrev_nc_u32_e32 v27, 32, v1
	v_subrev_nc_u32_e32 v28, 64, v1
	v_add_nc_u32_e32 v29, 0xffffff80, v1
	v_add_nc_u32_e32 v30, 0xffffff00, v1
	;; [unrolled: 1-line block ×5, first 2 shown]
	s_wait_xcnt 0x0
	s_lshl_b64 s[0:1], s[24:25], 4
	s_delay_alu instid0(SALU_CYCLE_1)
	s_sub_nc_u64 s[16:17], s[28:29], s[0:1]
	s_add_co_i32 s1, s22, -1
	s_branch .LBB78_41
.LBB78_40:                              ;   in Loop: Header=BB78_41 Depth=1
	s_wait_xcnt 0x0
	s_or_b32 exec_lo, exec_lo, s18
	v_add_nc_u64_e32 v[12:13], 0x800, v[12:13]
	v_add_nc_u64_e32 v[14:15], 0x800, v[14:15]
	;; [unrolled: 1-line block ×3, first 2 shown]
	s_add_co_i32 s1, s1, -1
	s_delay_alu instid0(SALU_CYCLE_1)
	s_cmp_eq_u32 s1, 0
	s_cbranch_scc1 .LBB78_85
.LBB78_41:                              ; =>This Inner Loop Header: Depth=1
	v_mov_b64_e32 v[6:7], 0
	v_mov_b64_e32 v[8:9], 0
	v_mov_b32_e32 v17, -1
	s_mov_b32 s0, exec_lo
	v_cmpx_gt_i64_e64 s[20:21], v[10:11]
	s_cbranch_execz .LBB78_43
; %bb.42:                               ;   in Loop: Header=BB78_41 Depth=1
	global_load_b64 v[40:41], v[14:15], off th:TH_LOAD_NT
	global_load_b64 v[6:7], v[12:13], off th:TH_LOAD_NT
	s_wait_loadcnt 0x1
	global_load_b128 v[36:39], v41, s[16:17] scale_offset
	s_wait_loadcnt 0x1
	v_cvt_f64_f32_e32 v[42:43], v7
	v_cvt_f64_f32_e32 v[44:45], v6
	v_subrev_nc_u32_e32 v17, s24, v40
	s_wait_loadcnt 0x0
	s_delay_alu instid0(VALU_DEP_3) | instskip(NEXT) | instid1(VALU_DEP_3)
	v_mul_f64_e64 v[6:7], v[38:39], -v[42:43]
	v_mul_f64_e32 v[8:9], v[38:39], v[44:45]
	s_delay_alu instid0(VALU_DEP_2) | instskip(NEXT) | instid1(VALU_DEP_2)
	v_fmac_f64_e32 v[6:7], v[44:45], v[36:37]
	v_fmac_f64_e32 v[8:9], v[42:43], v[36:37]
.LBB78_43:                              ;   in Loop: Header=BB78_41 Depth=1
	s_wait_xcnt 0x0
	s_or_b32 exec_lo, exec_lo, s0
	s_and_saveexec_b32 s0, s2
	s_cbranch_execz .LBB78_50
; %bb.44:                               ;   in Loop: Header=BB78_41 Depth=1
	ds_load_b32 v35, v34 offset:5116
	s_mov_b32 s18, exec_lo
	s_wait_dscnt 0x0
	v_cmpx_ne_u32_e64 v17, v35
	s_xor_b32 s18, exec_lo, s18
	s_cbranch_execz .LBB78_47
; %bb.45:                               ;   in Loop: Header=BB78_41 Depth=1
	v_cmp_gt_i32_e32 vcc_lo, 0, v35
	s_cbranch_vccnz .LBB78_47
; %bb.46:                               ;   in Loop: Header=BB78_41 Depth=1
	s_wait_kmcnt 0x0
	global_load_b128 v[36:39], v35, s[26:27] scale_offset
	ds_load_b128 v[40:43], v34 offset:4080
	s_wait_loadcnt_dscnt 0x0
	v_fmac_f64_e32 v[36:37], v[2:3], v[40:41]
	v_fmac_f64_e32 v[38:39], v[4:5], v[40:41]
	s_delay_alu instid0(VALU_DEP_2) | instskip(NEXT) | instid1(VALU_DEP_2)
	v_fma_f64 v[36:37], -v[4:5], v[42:43], v[36:37]
	v_fmac_f64_e32 v[38:39], v[2:3], v[42:43]
	global_store_b128 v35, v[36:39], s[26:27] scale_offset
.LBB78_47:                              ;   in Loop: Header=BB78_41 Depth=1
	s_wait_xcnt 0x0
	s_and_not1_saveexec_b32 s18, s18
	s_cbranch_execz .LBB78_49
; %bb.48:                               ;   in Loop: Header=BB78_41 Depth=1
	ds_load_b128 v[36:39], v34 offset:4080
	s_wait_dscnt 0x0
	v_add_f64_e32 v[6:7], v[6:7], v[36:37]
	v_add_f64_e32 v[8:9], v[8:9], v[38:39]
.LBB78_49:                              ;   in Loop: Header=BB78_41 Depth=1
	s_or_b32 exec_lo, exec_lo, s18
.LBB78_50:                              ;   in Loop: Header=BB78_41 Depth=1
	s_delay_alu instid0(SALU_CYCLE_1)
	s_or_b32 exec_lo, exec_lo, s0
	s_wait_storecnt 0x0
	s_barrier_signal -1
	s_barrier_wait -1
	ds_store_b32 v16, v17
	ds_store_b128 v1, v[6:9]
	s_wait_dscnt 0x0
	s_barrier_signal -1
	s_barrier_wait -1
	s_and_saveexec_b32 s0, s3
	s_cbranch_execz .LBB78_54
; %bb.51:                               ;   in Loop: Header=BB78_41 Depth=1
	ds_load_b32 v35, v18
	s_mov_b32 s18, exec_lo
	s_wait_dscnt 0x0
	v_cmpx_eq_u32_e64 v17, v35
	s_cbranch_execz .LBB78_53
; %bb.52:                               ;   in Loop: Header=BB78_41 Depth=1
	ds_load_b128 v[36:39], v26
	s_wait_dscnt 0x0
	v_add_f64_e32 v[6:7], v[6:7], v[36:37]
	v_add_f64_e32 v[8:9], v[8:9], v[38:39]
.LBB78_53:                              ;   in Loop: Header=BB78_41 Depth=1
	s_or_b32 exec_lo, exec_lo, s18
.LBB78_54:                              ;   in Loop: Header=BB78_41 Depth=1
	s_delay_alu instid0(SALU_CYCLE_1)
	s_or_b32 exec_lo, exec_lo, s0
	s_barrier_signal -1
	s_barrier_wait -1
	ds_store_b128 v1, v[6:9]
	s_wait_dscnt 0x0
	s_barrier_signal -1
	s_barrier_wait -1
	s_and_saveexec_b32 s0, s4
	s_cbranch_execz .LBB78_58
; %bb.55:                               ;   in Loop: Header=BB78_41 Depth=1
	ds_load_b32 v35, v19
	s_mov_b32 s18, exec_lo
	s_wait_dscnt 0x0
	v_cmpx_eq_u32_e64 v17, v35
	s_cbranch_execz .LBB78_57
; %bb.56:                               ;   in Loop: Header=BB78_41 Depth=1
	ds_load_b128 v[36:39], v27
	s_wait_dscnt 0x0
	v_add_f64_e32 v[6:7], v[6:7], v[36:37]
	v_add_f64_e32 v[8:9], v[8:9], v[38:39]
.LBB78_57:                              ;   in Loop: Header=BB78_41 Depth=1
	s_or_b32 exec_lo, exec_lo, s18
.LBB78_58:                              ;   in Loop: Header=BB78_41 Depth=1
	s_delay_alu instid0(SALU_CYCLE_1)
	s_or_b32 exec_lo, exec_lo, s0
	s_barrier_signal -1
	s_barrier_wait -1
	;; [unrolled: 24-line block ×8, first 2 shown]
	ds_store_b128 v1, v[6:9]
	s_wait_dscnt 0x0
	s_barrier_signal -1
	s_barrier_wait -1
	s_and_saveexec_b32 s18, s11
	s_cbranch_execz .LBB78_40
; %bb.83:                               ;   in Loop: Header=BB78_41 Depth=1
	ds_load_b32 v35, v16 offset:4
	v_cmp_lt_i32_e64 s0, -1, v17
	s_wait_dscnt 0x0
	v_cmp_ne_u32_e32 vcc_lo, v17, v35
	s_and_b32 s0, s0, vcc_lo
	s_delay_alu instid0(SALU_CYCLE_1)
	s_and_b32 exec_lo, exec_lo, s0
	s_cbranch_execz .LBB78_40
; %bb.84:                               ;   in Loop: Header=BB78_41 Depth=1
	s_wait_kmcnt 0x0
	global_load_b128 v[36:39], v17, s[26:27] scale_offset
	s_wait_loadcnt 0x0
	v_fmac_f64_e32 v[36:37], v[2:3], v[6:7]
	v_fmac_f64_e32 v[38:39], v[4:5], v[6:7]
	s_delay_alu instid0(VALU_DEP_2) | instskip(NEXT) | instid1(VALU_DEP_2)
	v_fma_f64 v[36:37], -v[4:5], v[8:9], v[36:37]
	v_fmac_f64_e32 v[38:39], v[2:3], v[8:9]
	global_store_b128 v17, v[36:39], s[26:27] scale_offset
	s_branch .LBB78_40
.LBB78_85:
	v_cmp_eq_u32_e32 vcc_lo, 0xff, v0
	s_and_b32 exec_lo, exec_lo, vcc_lo
	s_cbranch_execz .LBB78_87
; %bb.86:
	v_dual_mul_f64 v[10:11], v[8:9], -v[4:5] :: v_dual_mov_b32 v0, s23
	v_mul_f64_e32 v[12:13], v[2:3], v[8:9]
	s_delay_alu instid0(VALU_DEP_2) | instskip(NEXT) | instid1(VALU_DEP_2)
	v_fmac_f64_e32 v[10:11], v[2:3], v[6:7]
	v_fmac_f64_e32 v[12:13], v[4:5], v[6:7]
	s_wait_kmcnt 0x0
	s_clause 0x1
	global_store_b32 v0, v17, s[12:13] scale_offset th:TH_STORE_NT
	global_store_b128 v0, v[10:13], s[14:15] scale_offset th:TH_STORE_NT
.LBB78_87:
	s_endpgm
	.section	.rodata,"a",@progbits
	.p2align	6, 0x0
	.amdhsa_kernel _ZN9rocsparseL26coomvn_aos_segmented_loopsILj256Ei21rocsparse_complex_numIfES1_IdES3_S3_EEvlT0_NS_24const_host_device_scalarIT4_EEPKS4_PKT1_PKT2_PT3_PS4_PS6_21rocsparse_index_base_b
		.amdhsa_group_segment_fixed_size 5120
		.amdhsa_private_segment_fixed_size 0
		.amdhsa_kernarg_size 88
		.amdhsa_user_sgpr_count 2
		.amdhsa_user_sgpr_dispatch_ptr 0
		.amdhsa_user_sgpr_queue_ptr 0
		.amdhsa_user_sgpr_kernarg_segment_ptr 1
		.amdhsa_user_sgpr_dispatch_id 0
		.amdhsa_user_sgpr_kernarg_preload_length 0
		.amdhsa_user_sgpr_kernarg_preload_offset 0
		.amdhsa_user_sgpr_private_segment_size 0
		.amdhsa_wavefront_size32 1
		.amdhsa_uses_dynamic_stack 0
		.amdhsa_enable_private_segment 0
		.amdhsa_system_sgpr_workgroup_id_x 1
		.amdhsa_system_sgpr_workgroup_id_y 0
		.amdhsa_system_sgpr_workgroup_id_z 0
		.amdhsa_system_sgpr_workgroup_info 0
		.amdhsa_system_vgpr_workitem_id 0
		.amdhsa_next_free_vgpr 46
		.amdhsa_next_free_sgpr 30
		.amdhsa_named_barrier_count 0
		.amdhsa_reserve_vcc 1
		.amdhsa_float_round_mode_32 0
		.amdhsa_float_round_mode_16_64 0
		.amdhsa_float_denorm_mode_32 3
		.amdhsa_float_denorm_mode_16_64 3
		.amdhsa_fp16_overflow 0
		.amdhsa_memory_ordered 1
		.amdhsa_forward_progress 1
		.amdhsa_inst_pref_size 23
		.amdhsa_round_robin_scheduling 0
		.amdhsa_exception_fp_ieee_invalid_op 0
		.amdhsa_exception_fp_denorm_src 0
		.amdhsa_exception_fp_ieee_div_zero 0
		.amdhsa_exception_fp_ieee_overflow 0
		.amdhsa_exception_fp_ieee_underflow 0
		.amdhsa_exception_fp_ieee_inexact 0
		.amdhsa_exception_int_div_zero 0
	.end_amdhsa_kernel
	.section	.text._ZN9rocsparseL26coomvn_aos_segmented_loopsILj256Ei21rocsparse_complex_numIfES1_IdES3_S3_EEvlT0_NS_24const_host_device_scalarIT4_EEPKS4_PKT1_PKT2_PT3_PS4_PS6_21rocsparse_index_base_b,"axG",@progbits,_ZN9rocsparseL26coomvn_aos_segmented_loopsILj256Ei21rocsparse_complex_numIfES1_IdES3_S3_EEvlT0_NS_24const_host_device_scalarIT4_EEPKS4_PKT1_PKT2_PT3_PS4_PS6_21rocsparse_index_base_b,comdat
.Lfunc_end78:
	.size	_ZN9rocsparseL26coomvn_aos_segmented_loopsILj256Ei21rocsparse_complex_numIfES1_IdES3_S3_EEvlT0_NS_24const_host_device_scalarIT4_EEPKS4_PKT1_PKT2_PT3_PS4_PS6_21rocsparse_index_base_b, .Lfunc_end78-_ZN9rocsparseL26coomvn_aos_segmented_loopsILj256Ei21rocsparse_complex_numIfES1_IdES3_S3_EEvlT0_NS_24const_host_device_scalarIT4_EEPKS4_PKT1_PKT2_PT3_PS4_PS6_21rocsparse_index_base_b
                                        ; -- End function
	.set _ZN9rocsparseL26coomvn_aos_segmented_loopsILj256Ei21rocsparse_complex_numIfES1_IdES3_S3_EEvlT0_NS_24const_host_device_scalarIT4_EEPKS4_PKT1_PKT2_PT3_PS4_PS6_21rocsparse_index_base_b.num_vgpr, 46
	.set _ZN9rocsparseL26coomvn_aos_segmented_loopsILj256Ei21rocsparse_complex_numIfES1_IdES3_S3_EEvlT0_NS_24const_host_device_scalarIT4_EEPKS4_PKT1_PKT2_PT3_PS4_PS6_21rocsparse_index_base_b.num_agpr, 0
	.set _ZN9rocsparseL26coomvn_aos_segmented_loopsILj256Ei21rocsparse_complex_numIfES1_IdES3_S3_EEvlT0_NS_24const_host_device_scalarIT4_EEPKS4_PKT1_PKT2_PT3_PS4_PS6_21rocsparse_index_base_b.numbered_sgpr, 30
	.set _ZN9rocsparseL26coomvn_aos_segmented_loopsILj256Ei21rocsparse_complex_numIfES1_IdES3_S3_EEvlT0_NS_24const_host_device_scalarIT4_EEPKS4_PKT1_PKT2_PT3_PS4_PS6_21rocsparse_index_base_b.num_named_barrier, 0
	.set _ZN9rocsparseL26coomvn_aos_segmented_loopsILj256Ei21rocsparse_complex_numIfES1_IdES3_S3_EEvlT0_NS_24const_host_device_scalarIT4_EEPKS4_PKT1_PKT2_PT3_PS4_PS6_21rocsparse_index_base_b.private_seg_size, 0
	.set _ZN9rocsparseL26coomvn_aos_segmented_loopsILj256Ei21rocsparse_complex_numIfES1_IdES3_S3_EEvlT0_NS_24const_host_device_scalarIT4_EEPKS4_PKT1_PKT2_PT3_PS4_PS6_21rocsparse_index_base_b.uses_vcc, 1
	.set _ZN9rocsparseL26coomvn_aos_segmented_loopsILj256Ei21rocsparse_complex_numIfES1_IdES3_S3_EEvlT0_NS_24const_host_device_scalarIT4_EEPKS4_PKT1_PKT2_PT3_PS4_PS6_21rocsparse_index_base_b.uses_flat_scratch, 0
	.set _ZN9rocsparseL26coomvn_aos_segmented_loopsILj256Ei21rocsparse_complex_numIfES1_IdES3_S3_EEvlT0_NS_24const_host_device_scalarIT4_EEPKS4_PKT1_PKT2_PT3_PS4_PS6_21rocsparse_index_base_b.has_dyn_sized_stack, 0
	.set _ZN9rocsparseL26coomvn_aos_segmented_loopsILj256Ei21rocsparse_complex_numIfES1_IdES3_S3_EEvlT0_NS_24const_host_device_scalarIT4_EEPKS4_PKT1_PKT2_PT3_PS4_PS6_21rocsparse_index_base_b.has_recursion, 0
	.set _ZN9rocsparseL26coomvn_aos_segmented_loopsILj256Ei21rocsparse_complex_numIfES1_IdES3_S3_EEvlT0_NS_24const_host_device_scalarIT4_EEPKS4_PKT1_PKT2_PT3_PS4_PS6_21rocsparse_index_base_b.has_indirect_call, 0
	.section	.AMDGPU.csdata,"",@progbits
; Kernel info:
; codeLenInByte = 2928
; TotalNumSgprs: 32
; NumVgprs: 46
; ScratchSize: 0
; MemoryBound: 0
; FloatMode: 240
; IeeeMode: 1
; LDSByteSize: 5120 bytes/workgroup (compile time only)
; SGPRBlocks: 0
; VGPRBlocks: 2
; NumSGPRsForWavesPerEU: 32
; NumVGPRsForWavesPerEU: 46
; NamedBarCnt: 0
; Occupancy: 16
; WaveLimiterHint : 1
; COMPUTE_PGM_RSRC2:SCRATCH_EN: 0
; COMPUTE_PGM_RSRC2:USER_SGPR: 2
; COMPUTE_PGM_RSRC2:TRAP_HANDLER: 0
; COMPUTE_PGM_RSRC2:TGID_X_EN: 1
; COMPUTE_PGM_RSRC2:TGID_Y_EN: 0
; COMPUTE_PGM_RSRC2:TGID_Z_EN: 0
; COMPUTE_PGM_RSRC2:TIDIG_COMP_CNT: 0
	.section	.text._ZN9rocsparseL23coomvn_aos_atomic_loopsILj256ELj1El21rocsparse_complex_numIfES1_IdES3_S3_EEvlNS_24const_host_device_scalarIT5_EEPKT1_PKT2_PKT3_PT4_21rocsparse_index_base_b,"axG",@progbits,_ZN9rocsparseL23coomvn_aos_atomic_loopsILj256ELj1El21rocsparse_complex_numIfES1_IdES3_S3_EEvlNS_24const_host_device_scalarIT5_EEPKT1_PKT2_PKT3_PT4_21rocsparse_index_base_b,comdat
	.globl	_ZN9rocsparseL23coomvn_aos_atomic_loopsILj256ELj1El21rocsparse_complex_numIfES1_IdES3_S3_EEvlNS_24const_host_device_scalarIT5_EEPKT1_PKT2_PKT3_PT4_21rocsparse_index_base_b ; -- Begin function _ZN9rocsparseL23coomvn_aos_atomic_loopsILj256ELj1El21rocsparse_complex_numIfES1_IdES3_S3_EEvlNS_24const_host_device_scalarIT5_EEPKT1_PKT2_PKT3_PT4_21rocsparse_index_base_b
	.p2align	8
	.type	_ZN9rocsparseL23coomvn_aos_atomic_loopsILj256ELj1El21rocsparse_complex_numIfES1_IdES3_S3_EEvlNS_24const_host_device_scalarIT5_EEPKT1_PKT2_PKT3_PT4_21rocsparse_index_base_b,@function
_ZN9rocsparseL23coomvn_aos_atomic_loopsILj256ELj1El21rocsparse_complex_numIfES1_IdES3_S3_EEvlNS_24const_host_device_scalarIT5_EEPKT1_PKT2_PKT3_PT4_21rocsparse_index_base_b: ; @_ZN9rocsparseL23coomvn_aos_atomic_loopsILj256ELj1El21rocsparse_complex_numIfES1_IdES3_S3_EEvlNS_24const_host_device_scalarIT5_EEPKT1_PKT2_PKT3_PT4_21rocsparse_index_base_b
; %bb.0:
	s_clause 0x1
	s_load_b64 s[8:9], s[0:1], 0x38
	s_load_b128 s[4:7], s[0:1], 0x0
	v_mov_b32_e32 v13, 0
	s_or_b64 s[2:3], s[0:1], 8
	s_wait_kmcnt 0x0
	s_bitcmp1_b32 s9, 0
	s_cselect_b32 s3, s3, s7
	s_cselect_b32 s2, s2, s6
	flat_load_b128 v[2:5], v13, s[2:3]
	s_wait_loadcnt_dscnt 0x0
	v_cmp_neq_f64_e32 vcc_lo, 0, v[2:3]
	v_cmp_neq_f64_e64 s2, 0, v[4:5]
	s_or_b32 s2, vcc_lo, s2
	s_delay_alu instid0(SALU_CYCLE_1)
	s_and_saveexec_b32 s3, s2
	s_cbranch_execz .LBB79_40
; %bb.1:
	s_bfe_u32 s2, ttmp6, 0x4000c
	v_mov_b64_e32 v[6:7], 0
	s_add_co_i32 s2, s2, 1
	s_and_b32 s3, ttmp6, 15
	s_mul_i32 s2, ttmp9, s2
	s_getreg_b32 s6, hwreg(HW_REG_IB_STS2, 6, 4)
	s_add_co_i32 s3, s3, s2
	s_cmp_eq_u32 s6, 0
	v_mov_b64_e32 v[10:11], -1
	s_cselect_b32 s2, ttmp9, s3
	v_mov_b64_e32 v[8:9], v[6:7]
	v_lshl_or_b32 v12, s2, 8, v0
	s_mov_b32 s9, 0
	s_mov_b32 s2, exec_lo
	s_delay_alu instid0(VALU_DEP_1)
	v_cmpx_gt_i64_e64 s[4:5], v[12:13]
	s_cbranch_execz .LBB79_3
; %bb.2:
	s_clause 0x1
	s_load_b128 s[4:7], s[0:1], 0x18
	s_load_b64 s[10:11], s[0:1], 0x28
	s_wait_kmcnt 0x0
	v_lshl_add_u64 v[6:7], v[12:13], 4, s[4:5]
	global_load_b128 v[14:17], v[6:7], off th:TH_LOAD_NT
	s_wait_xcnt 0x0
	v_lshl_add_u64 v[6:7], v[12:13], 3, s[6:7]
	global_load_b64 v[6:7], v[6:7], off th:TH_LOAD_NT
	s_wait_loadcnt 0x1
	v_sub_nc_u64_e64 v[8:9], v[16:17], s[8:9]
	s_wait_loadcnt 0x0
	v_cvt_f64_f32_e32 v[16:17], v7
	s_delay_alu instid0(VALU_DEP_2)
	v_lshl_add_u64 v[8:9], v[8:9], 4, s[10:11]
	v_cvt_f64_f32_e32 v[18:19], v6
	global_load_b128 v[10:13], v[8:9], off
	s_wait_loadcnt 0x0
	v_mul_f64_e64 v[6:7], v[12:13], -v[16:17]
	v_mul_f64_e32 v[8:9], v[12:13], v[18:19]
	s_delay_alu instid0(VALU_DEP_2) | instskip(NEXT) | instid1(VALU_DEP_2)
	v_fmac_f64_e32 v[6:7], v[18:19], v[10:11]
	v_fmac_f64_e32 v[8:9], v[16:17], v[10:11]
	v_sub_nc_u64_e64 v[10:11], v[14:15], s[8:9]
.LBB79_3:
	s_or_b32 exec_lo, exec_lo, s2
	v_dual_lshlrev_b32 v13, 3, v0 :: v_dual_lshlrev_b32 v12, 4, v0
	s_mov_b32 s2, exec_lo
	ds_store_b64 v13, v[10:11] offset:4096
	ds_store_b128 v12, v[6:9]
	v_or_b32_e32 v1, 0x1000, v13
	s_wait_dscnt 0x0
	s_barrier_signal -1
	s_barrier_wait -1
	v_cmpx_ne_u32_e32 0, v0
	s_cbranch_execz .LBB79_7
; %bb.4:
	v_add_nc_u32_e32 v13, -8, v1
	s_mov_b32 s3, exec_lo
	ds_load_b64 v[14:15], v13
	s_wait_dscnt 0x0
	v_cmpx_eq_u64_e64 v[10:11], v[14:15]
	s_cbranch_execz .LBB79_6
; %bb.5:
	v_add_nc_u32_e32 v13, -16, v12
	ds_load_b128 v[14:17], v13
	s_wait_dscnt 0x0
	v_add_f64_e32 v[6:7], v[6:7], v[14:15]
	v_add_f64_e32 v[8:9], v[8:9], v[16:17]
.LBB79_6:
	s_or_b32 exec_lo, exec_lo, s3
.LBB79_7:
	s_delay_alu instid0(SALU_CYCLE_1) | instskip(NEXT) | instid1(SALU_CYCLE_1)
	s_or_b32 exec_lo, exec_lo, s2
	s_mov_b32 s2, exec_lo
	s_barrier_signal -1
	s_barrier_wait -1
	ds_store_b128 v12, v[6:9]
	s_wait_dscnt 0x0
	s_barrier_signal -1
	s_barrier_wait -1
	v_cmpx_lt_u32_e32 1, v0
	s_cbranch_execz .LBB79_11
; %bb.8:
	v_add_nc_u32_e32 v13, -16, v1
	s_mov_b32 s3, exec_lo
	ds_load_b64 v[14:15], v13
	s_wait_dscnt 0x0
	v_cmpx_eq_u64_e64 v[10:11], v[14:15]
	s_cbranch_execz .LBB79_10
; %bb.9:
	v_subrev_nc_u32_e32 v13, 32, v12
	ds_load_b128 v[14:17], v13
	s_wait_dscnt 0x0
	v_add_f64_e32 v[6:7], v[6:7], v[14:15]
	v_add_f64_e32 v[8:9], v[8:9], v[16:17]
.LBB79_10:
	s_or_b32 exec_lo, exec_lo, s3
.LBB79_11:
	s_delay_alu instid0(SALU_CYCLE_1) | instskip(NEXT) | instid1(SALU_CYCLE_1)
	s_or_b32 exec_lo, exec_lo, s2
	s_mov_b32 s2, exec_lo
	s_barrier_signal -1
	s_barrier_wait -1
	ds_store_b128 v12, v[6:9]
	s_wait_dscnt 0x0
	s_barrier_signal -1
	s_barrier_wait -1
	v_cmpx_lt_u32_e32 3, v0
	s_cbranch_execz .LBB79_15
; %bb.12:
	v_subrev_nc_u32_e32 v13, 32, v1
	s_mov_b32 s3, exec_lo
	ds_load_b64 v[14:15], v13
	s_wait_dscnt 0x0
	v_cmpx_eq_u64_e64 v[10:11], v[14:15]
	s_cbranch_execz .LBB79_14
; %bb.13:
	v_subrev_nc_u32_e32 v13, 64, v12
	ds_load_b128 v[14:17], v13
	s_wait_dscnt 0x0
	v_add_f64_e32 v[6:7], v[6:7], v[14:15]
	v_add_f64_e32 v[8:9], v[8:9], v[16:17]
.LBB79_14:
	s_or_b32 exec_lo, exec_lo, s3
.LBB79_15:
	s_delay_alu instid0(SALU_CYCLE_1) | instskip(NEXT) | instid1(SALU_CYCLE_1)
	s_or_b32 exec_lo, exec_lo, s2
	s_mov_b32 s2, exec_lo
	s_barrier_signal -1
	s_barrier_wait -1
	ds_store_b128 v12, v[6:9]
	s_wait_dscnt 0x0
	s_barrier_signal -1
	s_barrier_wait -1
	v_cmpx_lt_u32_e32 7, v0
	s_cbranch_execz .LBB79_19
; %bb.16:
	v_subrev_nc_u32_e32 v13, 64, v1
	s_mov_b32 s3, exec_lo
	ds_load_b64 v[14:15], v13
	s_wait_dscnt 0x0
	v_cmpx_eq_u64_e64 v[10:11], v[14:15]
	s_cbranch_execz .LBB79_18
; %bb.17:
	v_add_nc_u32_e32 v13, 0xffffff80, v12
	ds_load_b128 v[14:17], v13
	s_wait_dscnt 0x0
	v_add_f64_e32 v[6:7], v[6:7], v[14:15]
	v_add_f64_e32 v[8:9], v[8:9], v[16:17]
.LBB79_18:
	s_or_b32 exec_lo, exec_lo, s3
.LBB79_19:
	s_delay_alu instid0(SALU_CYCLE_1) | instskip(NEXT) | instid1(SALU_CYCLE_1)
	s_or_b32 exec_lo, exec_lo, s2
	s_mov_b32 s2, exec_lo
	s_barrier_signal -1
	s_barrier_wait -1
	ds_store_b128 v12, v[6:9]
	s_wait_dscnt 0x0
	s_barrier_signal -1
	s_barrier_wait -1
	v_cmpx_lt_u32_e32 15, v0
	s_cbranch_execz .LBB79_23
; %bb.20:
	v_add_nc_u32_e32 v13, 0xffffff80, v1
	s_mov_b32 s3, exec_lo
	ds_load_b64 v[14:15], v13
	s_wait_dscnt 0x0
	v_cmpx_eq_u64_e64 v[10:11], v[14:15]
	s_cbranch_execz .LBB79_22
; %bb.21:
	v_add_nc_u32_e32 v13, 0xffffff00, v12
	ds_load_b128 v[14:17], v13
	s_wait_dscnt 0x0
	v_add_f64_e32 v[6:7], v[6:7], v[14:15]
	v_add_f64_e32 v[8:9], v[8:9], v[16:17]
.LBB79_22:
	s_or_b32 exec_lo, exec_lo, s3
.LBB79_23:
	s_delay_alu instid0(SALU_CYCLE_1) | instskip(NEXT) | instid1(SALU_CYCLE_1)
	s_or_b32 exec_lo, exec_lo, s2
	s_mov_b32 s2, exec_lo
	s_barrier_signal -1
	s_barrier_wait -1
	ds_store_b128 v12, v[6:9]
	s_wait_dscnt 0x0
	s_barrier_signal -1
	s_barrier_wait -1
	v_cmpx_lt_u32_e32 31, v0
	s_cbranch_execz .LBB79_27
; %bb.24:
	v_add_nc_u32_e32 v13, 0xffffff00, v1
	s_mov_b32 s3, exec_lo
	ds_load_b64 v[14:15], v13
	s_wait_dscnt 0x0
	v_cmpx_eq_u64_e64 v[10:11], v[14:15]
	s_cbranch_execz .LBB79_26
; %bb.25:
	v_add_nc_u32_e32 v13, 0xfffffe00, v12
	ds_load_b128 v[14:17], v13
	s_wait_dscnt 0x0
	v_add_f64_e32 v[6:7], v[6:7], v[14:15]
	v_add_f64_e32 v[8:9], v[8:9], v[16:17]
.LBB79_26:
	s_or_b32 exec_lo, exec_lo, s3
.LBB79_27:
	;; [unrolled: 27-line block ×4, first 2 shown]
	s_delay_alu instid0(SALU_CYCLE_1)
	s_or_b32 exec_lo, exec_lo, s2
	s_load_b64 s[2:3], s[0:1], 0x30
	s_wait_xcnt 0x0
	s_mov_b32 s1, exec_lo
	s_barrier_signal -1
	s_barrier_wait -1
	ds_store_b128 v12, v[6:9]
	s_wait_dscnt 0x0
	s_barrier_signal -1
	s_barrier_wait -1
	v_cmpx_gt_u32_e32 0xff, v0
	s_cbranch_execz .LBB79_38
; %bb.36:
	ds_load_b64 v[12:13], v1 offset:8
	v_cmp_lt_i64_e64 s0, -1, v[10:11]
	s_wait_dscnt 0x0
	v_cmp_ne_u64_e32 vcc_lo, v[10:11], v[12:13]
	s_and_b32 s0, s0, vcc_lo
	s_delay_alu instid0(SALU_CYCLE_1)
	s_and_b32 exec_lo, exec_lo, s0
	s_cbranch_execz .LBB79_38
; %bb.37:
	v_mul_f64_e64 v[12:13], v[8:9], -v[4:5]
	v_mul_f64_e32 v[14:15], v[2:3], v[8:9]
	s_wait_kmcnt 0x0
	v_lshl_add_u64 v[16:17], v[10:11], 4, s[2:3]
	s_delay_alu instid0(VALU_DEP_3) | instskip(NEXT) | instid1(VALU_DEP_3)
	v_fmac_f64_e32 v[12:13], v[2:3], v[6:7]
	v_fmac_f64_e32 v[14:15], v[4:5], v[6:7]
	global_atomic_add_f64 v[16:17], v[12:13], off scope:SCOPE_DEV
	s_wait_xcnt 0x0
	global_atomic_add_f64 v[16:17], v[14:15], off offset:8 scope:SCOPE_DEV
.LBB79_38:
	s_wait_xcnt 0x0
	s_or_b32 exec_lo, exec_lo, s1
	v_cmp_lt_i64_e32 vcc_lo, -1, v[10:11]
	v_cmp_eq_u32_e64 s0, 0xff, v0
	s_and_b32 s0, s0, vcc_lo
	s_delay_alu instid0(SALU_CYCLE_1)
	s_and_b32 exec_lo, exec_lo, s0
	s_cbranch_execz .LBB79_40
; %bb.39:
	v_mul_f64_e64 v[0:1], v[8:9], -v[4:5]
	v_mul_f64_e32 v[8:9], v[2:3], v[8:9]
	s_delay_alu instid0(VALU_DEP_2) | instskip(NEXT) | instid1(VALU_DEP_2)
	v_fmac_f64_e32 v[0:1], v[2:3], v[6:7]
	v_fmac_f64_e32 v[8:9], v[4:5], v[6:7]
	s_wait_kmcnt 0x0
	v_lshl_add_u64 v[2:3], v[10:11], 4, s[2:3]
	global_atomic_add_f64 v[2:3], v[0:1], off scope:SCOPE_DEV
	s_wait_xcnt 0x0
	global_atomic_add_f64 v[2:3], v[8:9], off offset:8 scope:SCOPE_DEV
.LBB79_40:
	s_endpgm
	.section	.rodata,"a",@progbits
	.p2align	6, 0x0
	.amdhsa_kernel _ZN9rocsparseL23coomvn_aos_atomic_loopsILj256ELj1El21rocsparse_complex_numIfES1_IdES3_S3_EEvlNS_24const_host_device_scalarIT5_EEPKT1_PKT2_PKT3_PT4_21rocsparse_index_base_b
		.amdhsa_group_segment_fixed_size 6144
		.amdhsa_private_segment_fixed_size 0
		.amdhsa_kernarg_size 64
		.amdhsa_user_sgpr_count 2
		.amdhsa_user_sgpr_dispatch_ptr 0
		.amdhsa_user_sgpr_queue_ptr 0
		.amdhsa_user_sgpr_kernarg_segment_ptr 1
		.amdhsa_user_sgpr_dispatch_id 0
		.amdhsa_user_sgpr_kernarg_preload_length 0
		.amdhsa_user_sgpr_kernarg_preload_offset 0
		.amdhsa_user_sgpr_private_segment_size 0
		.amdhsa_wavefront_size32 1
		.amdhsa_uses_dynamic_stack 0
		.amdhsa_enable_private_segment 0
		.amdhsa_system_sgpr_workgroup_id_x 1
		.amdhsa_system_sgpr_workgroup_id_y 0
		.amdhsa_system_sgpr_workgroup_id_z 0
		.amdhsa_system_sgpr_workgroup_info 0
		.amdhsa_system_vgpr_workitem_id 0
		.amdhsa_next_free_vgpr 20
		.amdhsa_next_free_sgpr 12
		.amdhsa_named_barrier_count 0
		.amdhsa_reserve_vcc 1
		.amdhsa_float_round_mode_32 0
		.amdhsa_float_round_mode_16_64 0
		.amdhsa_float_denorm_mode_32 3
		.amdhsa_float_denorm_mode_16_64 3
		.amdhsa_fp16_overflow 0
		.amdhsa_memory_ordered 1
		.amdhsa_forward_progress 1
		.amdhsa_inst_pref_size 12
		.amdhsa_round_robin_scheduling 0
		.amdhsa_exception_fp_ieee_invalid_op 0
		.amdhsa_exception_fp_denorm_src 0
		.amdhsa_exception_fp_ieee_div_zero 0
		.amdhsa_exception_fp_ieee_overflow 0
		.amdhsa_exception_fp_ieee_underflow 0
		.amdhsa_exception_fp_ieee_inexact 0
		.amdhsa_exception_int_div_zero 0
	.end_amdhsa_kernel
	.section	.text._ZN9rocsparseL23coomvn_aos_atomic_loopsILj256ELj1El21rocsparse_complex_numIfES1_IdES3_S3_EEvlNS_24const_host_device_scalarIT5_EEPKT1_PKT2_PKT3_PT4_21rocsparse_index_base_b,"axG",@progbits,_ZN9rocsparseL23coomvn_aos_atomic_loopsILj256ELj1El21rocsparse_complex_numIfES1_IdES3_S3_EEvlNS_24const_host_device_scalarIT5_EEPKT1_PKT2_PKT3_PT4_21rocsparse_index_base_b,comdat
.Lfunc_end79:
	.size	_ZN9rocsparseL23coomvn_aos_atomic_loopsILj256ELj1El21rocsparse_complex_numIfES1_IdES3_S3_EEvlNS_24const_host_device_scalarIT5_EEPKT1_PKT2_PKT3_PT4_21rocsparse_index_base_b, .Lfunc_end79-_ZN9rocsparseL23coomvn_aos_atomic_loopsILj256ELj1El21rocsparse_complex_numIfES1_IdES3_S3_EEvlNS_24const_host_device_scalarIT5_EEPKT1_PKT2_PKT3_PT4_21rocsparse_index_base_b
                                        ; -- End function
	.set _ZN9rocsparseL23coomvn_aos_atomic_loopsILj256ELj1El21rocsparse_complex_numIfES1_IdES3_S3_EEvlNS_24const_host_device_scalarIT5_EEPKT1_PKT2_PKT3_PT4_21rocsparse_index_base_b.num_vgpr, 20
	.set _ZN9rocsparseL23coomvn_aos_atomic_loopsILj256ELj1El21rocsparse_complex_numIfES1_IdES3_S3_EEvlNS_24const_host_device_scalarIT5_EEPKT1_PKT2_PKT3_PT4_21rocsparse_index_base_b.num_agpr, 0
	.set _ZN9rocsparseL23coomvn_aos_atomic_loopsILj256ELj1El21rocsparse_complex_numIfES1_IdES3_S3_EEvlNS_24const_host_device_scalarIT5_EEPKT1_PKT2_PKT3_PT4_21rocsparse_index_base_b.numbered_sgpr, 12
	.set _ZN9rocsparseL23coomvn_aos_atomic_loopsILj256ELj1El21rocsparse_complex_numIfES1_IdES3_S3_EEvlNS_24const_host_device_scalarIT5_EEPKT1_PKT2_PKT3_PT4_21rocsparse_index_base_b.num_named_barrier, 0
	.set _ZN9rocsparseL23coomvn_aos_atomic_loopsILj256ELj1El21rocsparse_complex_numIfES1_IdES3_S3_EEvlNS_24const_host_device_scalarIT5_EEPKT1_PKT2_PKT3_PT4_21rocsparse_index_base_b.private_seg_size, 0
	.set _ZN9rocsparseL23coomvn_aos_atomic_loopsILj256ELj1El21rocsparse_complex_numIfES1_IdES3_S3_EEvlNS_24const_host_device_scalarIT5_EEPKT1_PKT2_PKT3_PT4_21rocsparse_index_base_b.uses_vcc, 1
	.set _ZN9rocsparseL23coomvn_aos_atomic_loopsILj256ELj1El21rocsparse_complex_numIfES1_IdES3_S3_EEvlNS_24const_host_device_scalarIT5_EEPKT1_PKT2_PKT3_PT4_21rocsparse_index_base_b.uses_flat_scratch, 0
	.set _ZN9rocsparseL23coomvn_aos_atomic_loopsILj256ELj1El21rocsparse_complex_numIfES1_IdES3_S3_EEvlNS_24const_host_device_scalarIT5_EEPKT1_PKT2_PKT3_PT4_21rocsparse_index_base_b.has_dyn_sized_stack, 0
	.set _ZN9rocsparseL23coomvn_aos_atomic_loopsILj256ELj1El21rocsparse_complex_numIfES1_IdES3_S3_EEvlNS_24const_host_device_scalarIT5_EEPKT1_PKT2_PKT3_PT4_21rocsparse_index_base_b.has_recursion, 0
	.set _ZN9rocsparseL23coomvn_aos_atomic_loopsILj256ELj1El21rocsparse_complex_numIfES1_IdES3_S3_EEvlNS_24const_host_device_scalarIT5_EEPKT1_PKT2_PKT3_PT4_21rocsparse_index_base_b.has_indirect_call, 0
	.section	.AMDGPU.csdata,"",@progbits
; Kernel info:
; codeLenInByte = 1516
; TotalNumSgprs: 14
; NumVgprs: 20
; ScratchSize: 0
; MemoryBound: 0
; FloatMode: 240
; IeeeMode: 1
; LDSByteSize: 6144 bytes/workgroup (compile time only)
; SGPRBlocks: 0
; VGPRBlocks: 1
; NumSGPRsForWavesPerEU: 14
; NumVGPRsForWavesPerEU: 20
; NamedBarCnt: 0
; Occupancy: 16
; WaveLimiterHint : 1
; COMPUTE_PGM_RSRC2:SCRATCH_EN: 0
; COMPUTE_PGM_RSRC2:USER_SGPR: 2
; COMPUTE_PGM_RSRC2:TRAP_HANDLER: 0
; COMPUTE_PGM_RSRC2:TGID_X_EN: 1
; COMPUTE_PGM_RSRC2:TGID_Y_EN: 0
; COMPUTE_PGM_RSRC2:TGID_Z_EN: 0
; COMPUTE_PGM_RSRC2:TIDIG_COMP_CNT: 0
	.section	.text._ZN9rocsparseL17coomvt_aos_kernelILj1024El21rocsparse_complex_numIfES1_IdES3_S3_EEv20rocsparse_operation_lNS_24const_host_device_scalarIT4_EEPKT0_PKT1_PKT2_PT3_21rocsparse_index_base_b,"axG",@progbits,_ZN9rocsparseL17coomvt_aos_kernelILj1024El21rocsparse_complex_numIfES1_IdES3_S3_EEv20rocsparse_operation_lNS_24const_host_device_scalarIT4_EEPKT0_PKT1_PKT2_PT3_21rocsparse_index_base_b,comdat
	.globl	_ZN9rocsparseL17coomvt_aos_kernelILj1024El21rocsparse_complex_numIfES1_IdES3_S3_EEv20rocsparse_operation_lNS_24const_host_device_scalarIT4_EEPKT0_PKT1_PKT2_PT3_21rocsparse_index_base_b ; -- Begin function _ZN9rocsparseL17coomvt_aos_kernelILj1024El21rocsparse_complex_numIfES1_IdES3_S3_EEv20rocsparse_operation_lNS_24const_host_device_scalarIT4_EEPKT0_PKT1_PKT2_PT3_21rocsparse_index_base_b
	.p2align	8
	.type	_ZN9rocsparseL17coomvt_aos_kernelILj1024El21rocsparse_complex_numIfES1_IdES3_S3_EEv20rocsparse_operation_lNS_24const_host_device_scalarIT4_EEPKT0_PKT1_PKT2_PT3_21rocsparse_index_base_b,@function
_ZN9rocsparseL17coomvt_aos_kernelILj1024El21rocsparse_complex_numIfES1_IdES3_S3_EEv20rocsparse_operation_lNS_24const_host_device_scalarIT4_EEPKT0_PKT1_PKT2_PT3_21rocsparse_index_base_b: ; @_ZN9rocsparseL17coomvt_aos_kernelILj1024El21rocsparse_complex_numIfES1_IdES3_S3_EEv20rocsparse_operation_lNS_24const_host_device_scalarIT4_EEPKT0_PKT1_PKT2_PT3_21rocsparse_index_base_b
; %bb.0:
	s_clause 0x1
	s_load_b64 s[12:13], s[0:1], 0x40
	s_load_b128 s[4:7], s[0:1], 0x8
	v_mov_b32_e32 v1, 0
	s_add_nc_u64 s[2:3], s[0:1], 16
	s_wait_kmcnt 0x0
	s_bitcmp1_b32 s13, 0
	s_cselect_b32 s3, s3, s7
	s_cselect_b32 s2, s2, s6
	flat_load_b128 v[2:5], v1, s[2:3]
	s_wait_loadcnt_dscnt 0x0
	v_cmp_neq_f64_e32 vcc_lo, 0, v[2:3]
	v_cmp_neq_f64_e64 s2, 0, v[4:5]
	s_or_b32 s2, vcc_lo, s2
	s_delay_alu instid0(SALU_CYCLE_1)
	s_and_saveexec_b32 s3, s2
	s_cbranch_execz .LBB80_3
; %bb.1:
	s_load_b32 s2, s[0:1], 0x54
	s_bfe_u32 s3, ttmp6, 0x4000c
	s_and_b32 s6, ttmp6, 15
	s_add_co_i32 s3, s3, 1
	s_getreg_b32 s7, hwreg(HW_REG_IB_STS2, 6, 4)
	s_mul_i32 s3, ttmp9, s3
	s_mov_b32 s13, 0
	s_add_co_i32 s6, s6, s3
	s_wait_kmcnt 0x0
	s_and_b32 s2, s2, 0xffff
	s_cmp_eq_u32 s7, 0
	s_cselect_b32 s3, ttmp9, s6
	s_delay_alu instid0(SALU_CYCLE_1) | instskip(NEXT) | instid1(VALU_DEP_1)
	v_mad_u32 v0, s3, s2, v0
	v_cmp_gt_i64_e32 vcc_lo, s[4:5], v[0:1]
	s_and_b32 exec_lo, exec_lo, vcc_lo
	s_cbranch_execz .LBB80_3
; %bb.2:
	s_load_b256 s[4:11], s[0:1], 0x20
	s_wait_kmcnt 0x0
	v_lshl_add_u64 v[6:7], v[0:1], 4, s[4:5]
	v_lshl_add_u64 v[0:1], v[0:1], 3, s[6:7]
	s_load_b32 s0, s[0:1], 0x0
	global_load_b128 v[6:9], v[6:7], off
	global_load_b64 v[0:1], v[0:1], off
	s_wait_kmcnt 0x0
	s_cmp_eq_u32 s0, 0x71
	s_cselect_b32 s0, -1, 0
	s_wait_loadcnt 0x1
	s_wait_xcnt 0x1
	v_sub_nc_u64_e64 v[6:7], v[6:7], s[12:13]
	s_wait_loadcnt 0x0
	v_cndmask_b32_e64 v1, v1, -v1, s0
	s_delay_alu instid0(VALU_DEP_2) | instskip(SKIP_4) | instid1(VALU_DEP_2)
	v_lshl_add_u64 v[6:7], v[6:7], 4, s[8:9]
	global_load_b128 v[10:13], v[6:7], off
	s_wait_xcnt 0x0
	v_cvt_f64_f32_e32 v[6:7], v1
	v_cvt_f64_f32_e32 v[0:1], v0
	v_mul_f64_e32 v[14:15], v[2:3], v[6:7]
	v_mul_f64_e64 v[6:7], -v[4:5], v[6:7]
	s_delay_alu instid0(VALU_DEP_2) | instskip(NEXT) | instid1(VALU_DEP_2)
	v_fmac_f64_e32 v[14:15], v[4:5], v[0:1]
	v_fmac_f64_e32 v[6:7], v[2:3], v[0:1]
	v_sub_nc_u64_e64 v[4:5], v[8:9], s[12:13]
	s_delay_alu instid0(VALU_DEP_1) | instskip(SKIP_1) | instid1(VALU_DEP_4)
	v_lshl_add_u64 v[4:5], v[4:5], 4, s[10:11]
	s_wait_loadcnt 0x0
	v_mul_f64_e64 v[0:1], v[12:13], -v[14:15]
	s_delay_alu instid0(VALU_DEP_4) | instskip(NEXT) | instid1(VALU_DEP_2)
	v_mul_f64_e32 v[2:3], v[12:13], v[6:7]
	v_fmac_f64_e32 v[0:1], v[6:7], v[10:11]
	s_delay_alu instid0(VALU_DEP_2)
	v_fmac_f64_e32 v[2:3], v[14:15], v[10:11]
	global_atomic_add_f64 v[4:5], v[0:1], off scope:SCOPE_DEV
	s_wait_xcnt 0x0
	global_atomic_add_f64 v[4:5], v[2:3], off offset:8 scope:SCOPE_DEV
.LBB80_3:
	s_endpgm
	.section	.rodata,"a",@progbits
	.p2align	6, 0x0
	.amdhsa_kernel _ZN9rocsparseL17coomvt_aos_kernelILj1024El21rocsparse_complex_numIfES1_IdES3_S3_EEv20rocsparse_operation_lNS_24const_host_device_scalarIT4_EEPKT0_PKT1_PKT2_PT3_21rocsparse_index_base_b
		.amdhsa_group_segment_fixed_size 0
		.amdhsa_private_segment_fixed_size 0
		.amdhsa_kernarg_size 328
		.amdhsa_user_sgpr_count 2
		.amdhsa_user_sgpr_dispatch_ptr 0
		.amdhsa_user_sgpr_queue_ptr 0
		.amdhsa_user_sgpr_kernarg_segment_ptr 1
		.amdhsa_user_sgpr_dispatch_id 0
		.amdhsa_user_sgpr_kernarg_preload_length 0
		.amdhsa_user_sgpr_kernarg_preload_offset 0
		.amdhsa_user_sgpr_private_segment_size 0
		.amdhsa_wavefront_size32 1
		.amdhsa_uses_dynamic_stack 0
		.amdhsa_enable_private_segment 0
		.amdhsa_system_sgpr_workgroup_id_x 1
		.amdhsa_system_sgpr_workgroup_id_y 0
		.amdhsa_system_sgpr_workgroup_id_z 0
		.amdhsa_system_sgpr_workgroup_info 0
		.amdhsa_system_vgpr_workitem_id 0
		.amdhsa_next_free_vgpr 16
		.amdhsa_next_free_sgpr 14
		.amdhsa_named_barrier_count 0
		.amdhsa_reserve_vcc 1
		.amdhsa_float_round_mode_32 0
		.amdhsa_float_round_mode_16_64 0
		.amdhsa_float_denorm_mode_32 3
		.amdhsa_float_denorm_mode_16_64 3
		.amdhsa_fp16_overflow 0
		.amdhsa_memory_ordered 1
		.amdhsa_forward_progress 1
		.amdhsa_inst_pref_size 4
		.amdhsa_round_robin_scheduling 0
		.amdhsa_exception_fp_ieee_invalid_op 0
		.amdhsa_exception_fp_denorm_src 0
		.amdhsa_exception_fp_ieee_div_zero 0
		.amdhsa_exception_fp_ieee_overflow 0
		.amdhsa_exception_fp_ieee_underflow 0
		.amdhsa_exception_fp_ieee_inexact 0
		.amdhsa_exception_int_div_zero 0
	.end_amdhsa_kernel
	.section	.text._ZN9rocsparseL17coomvt_aos_kernelILj1024El21rocsparse_complex_numIfES1_IdES3_S3_EEv20rocsparse_operation_lNS_24const_host_device_scalarIT4_EEPKT0_PKT1_PKT2_PT3_21rocsparse_index_base_b,"axG",@progbits,_ZN9rocsparseL17coomvt_aos_kernelILj1024El21rocsparse_complex_numIfES1_IdES3_S3_EEv20rocsparse_operation_lNS_24const_host_device_scalarIT4_EEPKT0_PKT1_PKT2_PT3_21rocsparse_index_base_b,comdat
.Lfunc_end80:
	.size	_ZN9rocsparseL17coomvt_aos_kernelILj1024El21rocsparse_complex_numIfES1_IdES3_S3_EEv20rocsparse_operation_lNS_24const_host_device_scalarIT4_EEPKT0_PKT1_PKT2_PT3_21rocsparse_index_base_b, .Lfunc_end80-_ZN9rocsparseL17coomvt_aos_kernelILj1024El21rocsparse_complex_numIfES1_IdES3_S3_EEv20rocsparse_operation_lNS_24const_host_device_scalarIT4_EEPKT0_PKT1_PKT2_PT3_21rocsparse_index_base_b
                                        ; -- End function
	.set _ZN9rocsparseL17coomvt_aos_kernelILj1024El21rocsparse_complex_numIfES1_IdES3_S3_EEv20rocsparse_operation_lNS_24const_host_device_scalarIT4_EEPKT0_PKT1_PKT2_PT3_21rocsparse_index_base_b.num_vgpr, 16
	.set _ZN9rocsparseL17coomvt_aos_kernelILj1024El21rocsparse_complex_numIfES1_IdES3_S3_EEv20rocsparse_operation_lNS_24const_host_device_scalarIT4_EEPKT0_PKT1_PKT2_PT3_21rocsparse_index_base_b.num_agpr, 0
	.set _ZN9rocsparseL17coomvt_aos_kernelILj1024El21rocsparse_complex_numIfES1_IdES3_S3_EEv20rocsparse_operation_lNS_24const_host_device_scalarIT4_EEPKT0_PKT1_PKT2_PT3_21rocsparse_index_base_b.numbered_sgpr, 14
	.set _ZN9rocsparseL17coomvt_aos_kernelILj1024El21rocsparse_complex_numIfES1_IdES3_S3_EEv20rocsparse_operation_lNS_24const_host_device_scalarIT4_EEPKT0_PKT1_PKT2_PT3_21rocsparse_index_base_b.num_named_barrier, 0
	.set _ZN9rocsparseL17coomvt_aos_kernelILj1024El21rocsparse_complex_numIfES1_IdES3_S3_EEv20rocsparse_operation_lNS_24const_host_device_scalarIT4_EEPKT0_PKT1_PKT2_PT3_21rocsparse_index_base_b.private_seg_size, 0
	.set _ZN9rocsparseL17coomvt_aos_kernelILj1024El21rocsparse_complex_numIfES1_IdES3_S3_EEv20rocsparse_operation_lNS_24const_host_device_scalarIT4_EEPKT0_PKT1_PKT2_PT3_21rocsparse_index_base_b.uses_vcc, 1
	.set _ZN9rocsparseL17coomvt_aos_kernelILj1024El21rocsparse_complex_numIfES1_IdES3_S3_EEv20rocsparse_operation_lNS_24const_host_device_scalarIT4_EEPKT0_PKT1_PKT2_PT3_21rocsparse_index_base_b.uses_flat_scratch, 0
	.set _ZN9rocsparseL17coomvt_aos_kernelILj1024El21rocsparse_complex_numIfES1_IdES3_S3_EEv20rocsparse_operation_lNS_24const_host_device_scalarIT4_EEPKT0_PKT1_PKT2_PT3_21rocsparse_index_base_b.has_dyn_sized_stack, 0
	.set _ZN9rocsparseL17coomvt_aos_kernelILj1024El21rocsparse_complex_numIfES1_IdES3_S3_EEv20rocsparse_operation_lNS_24const_host_device_scalarIT4_EEPKT0_PKT1_PKT2_PT3_21rocsparse_index_base_b.has_recursion, 0
	.set _ZN9rocsparseL17coomvt_aos_kernelILj1024El21rocsparse_complex_numIfES1_IdES3_S3_EEv20rocsparse_operation_lNS_24const_host_device_scalarIT4_EEPKT0_PKT1_PKT2_PT3_21rocsparse_index_base_b.has_indirect_call, 0
	.section	.AMDGPU.csdata,"",@progbits
; Kernel info:
; codeLenInByte = 420
; TotalNumSgprs: 16
; NumVgprs: 16
; ScratchSize: 0
; MemoryBound: 0
; FloatMode: 240
; IeeeMode: 1
; LDSByteSize: 0 bytes/workgroup (compile time only)
; SGPRBlocks: 0
; VGPRBlocks: 0
; NumSGPRsForWavesPerEU: 16
; NumVGPRsForWavesPerEU: 16
; NamedBarCnt: 0
; Occupancy: 16
; WaveLimiterHint : 1
; COMPUTE_PGM_RSRC2:SCRATCH_EN: 0
; COMPUTE_PGM_RSRC2:USER_SGPR: 2
; COMPUTE_PGM_RSRC2:TRAP_HANDLER: 0
; COMPUTE_PGM_RSRC2:TGID_X_EN: 1
; COMPUTE_PGM_RSRC2:TGID_Y_EN: 0
; COMPUTE_PGM_RSRC2:TGID_Z_EN: 0
; COMPUTE_PGM_RSRC2:TIDIG_COMP_CNT: 0
	.section	.text._ZN9rocsparseL26coomvn_aos_segmented_loopsILj256El21rocsparse_complex_numIfES1_IdES3_S3_EEvlT0_NS_24const_host_device_scalarIT4_EEPKS4_PKT1_PKT2_PT3_PS4_PS6_21rocsparse_index_base_b,"axG",@progbits,_ZN9rocsparseL26coomvn_aos_segmented_loopsILj256El21rocsparse_complex_numIfES1_IdES3_S3_EEvlT0_NS_24const_host_device_scalarIT4_EEPKS4_PKT1_PKT2_PT3_PS4_PS6_21rocsparse_index_base_b,comdat
	.globl	_ZN9rocsparseL26coomvn_aos_segmented_loopsILj256El21rocsparse_complex_numIfES1_IdES3_S3_EEvlT0_NS_24const_host_device_scalarIT4_EEPKS4_PKT1_PKT2_PT3_PS4_PS6_21rocsparse_index_base_b ; -- Begin function _ZN9rocsparseL26coomvn_aos_segmented_loopsILj256El21rocsparse_complex_numIfES1_IdES3_S3_EEvlT0_NS_24const_host_device_scalarIT4_EEPKS4_PKT1_PKT2_PT3_PS4_PS6_21rocsparse_index_base_b
	.p2align	8
	.type	_ZN9rocsparseL26coomvn_aos_segmented_loopsILj256El21rocsparse_complex_numIfES1_IdES3_S3_EEvlT0_NS_24const_host_device_scalarIT4_EEPKS4_PKT1_PKT2_PT3_PS4_PS6_21rocsparse_index_base_b,@function
_ZN9rocsparseL26coomvn_aos_segmented_loopsILj256El21rocsparse_complex_numIfES1_IdES3_S3_EEvlT0_NS_24const_host_device_scalarIT4_EEPKS4_PKT1_PKT2_PT3_PS4_PS6_21rocsparse_index_base_b: ; @_ZN9rocsparseL26coomvn_aos_segmented_loopsILj256El21rocsparse_complex_numIfES1_IdES3_S3_EEvlT0_NS_24const_host_device_scalarIT4_EEPKS4_PKT1_PKT2_PT3_PS4_PS6_21rocsparse_index_base_b
; %bb.0:
	s_clause 0x1
	s_load_b64 s[14:15], s[0:1], 0x50
	s_load_b64 s[2:3], s[0:1], 0x10
	v_mov_b32_e32 v1, 0
	s_add_nc_u64 s[4:5], s[0:1], 16
	s_wait_kmcnt 0x0
	s_bitcmp1_b32 s15, 0
	s_cselect_b32 s3, s5, s3
	s_cselect_b32 s2, s4, s2
	flat_load_b128 v[2:5], v1, s[2:3]
	s_wait_loadcnt_dscnt 0x0
	v_cmp_neq_f64_e32 vcc_lo, 0, v[2:3]
	v_cmp_neq_f64_e64 s2, 0, v[4:5]
	s_or_b32 s2, vcc_lo, s2
	s_delay_alu instid0(SALU_CYCLE_1)
	s_and_saveexec_b32 s3, s2
	s_cbranch_execz .LBB81_87
; %bb.1:
	s_clause 0x1
	s_load_b128 s[16:19], s[0:1], 0x0
	s_load_b128 s[20:23], s[0:1], 0x20
	s_bfe_u32 s2, ttmp6, 0x4000c
	s_load_b64 s[28:29], s[0:1], 0x30
	s_add_co_i32 s2, s2, 1
	s_and_b32 s3, ttmp6, 15
	s_mul_i32 s2, ttmp9, s2
	s_getreg_b32 s4, hwreg(HW_REG_IB_STS2, 6, 4)
	s_add_co_i32 s3, s3, s2
	v_mov_b64_e32 v[6:7], 0
	s_cmp_eq_u32 s4, 0
	s_mov_b32 s25, 0
	s_cselect_b32 s24, ttmp9, s3
	v_mov_b64_e32 v[14:15], -1
	s_delay_alu instid0(VALU_DEP_2) | instskip(SKIP_2) | instid1(SALU_CYCLE_1)
	v_mov_b64_e32 v[8:9], v[6:7]
	s_wait_kmcnt 0x0
	s_mul_u64 s[30:31], s[24:25], s[18:19]
	s_lshl_b64 s[2:3], s[30:31], 8
	s_delay_alu instid0(SALU_CYCLE_1) | instskip(SKIP_1) | instid1(VALU_DEP_1)
	v_dual_mov_b32 v17, s3 :: v_dual_bitop2_b32 v16, s2, v0 bitop3:0x54
	s_mov_b32 s2, exec_lo
	v_cmpx_gt_i64_e64 s[16:17], v[16:17]
	s_cbranch_execz .LBB81_3
; %bb.2:
	v_lshl_add_u64 v[6:7], v[16:17], 4, s[20:21]
	v_lshl_add_u64 v[10:11], v[16:17], 3, s[22:23]
	s_mov_b32 s15, s25
	global_load_b128 v[6:9], v[6:7], off th:TH_LOAD_NT
	global_load_b64 v[18:19], v[10:11], off th:TH_LOAD_NT
	s_wait_loadcnt 0x1
	v_sub_nc_u64_e64 v[14:15], v[6:7], s[14:15]
	v_lshl_add_u64 v[6:7], v[8:9], 4, s[28:29]
	s_ashr_i32 s15, s14, 31
	s_wait_loadcnt 0x0
	v_cvt_f64_f32_e32 v[20:21], v19
	s_lshl_b64 s[4:5], s[14:15], 4
	v_cvt_f64_f32_e32 v[18:19], v18
	v_sub_nc_u64_e64 v[6:7], v[6:7], s[4:5]
	global_load_b128 v[10:13], v[6:7], off
	s_wait_loadcnt 0x0
	v_mul_f64_e64 v[6:7], v[12:13], -v[20:21]
	v_mul_f64_e32 v[8:9], v[12:13], v[18:19]
	s_delay_alu instid0(VALU_DEP_2) | instskip(NEXT) | instid1(VALU_DEP_2)
	v_fmac_f64_e32 v[6:7], v[18:19], v[10:11]
	v_fmac_f64_e32 v[8:9], v[20:21], v[10:11]
.LBB81_3:
	s_or_b32 exec_lo, exec_lo, s2
	v_dual_lshlrev_b32 v10, 3, v0 :: v_dual_lshlrev_b32 v12, 4, v0
	v_cmp_eq_u32_e64 s2, 0, v0
	v_cmp_ne_u32_e64 s3, 0, v0
	ds_store_b64 v10, v[14:15] offset:4096
	ds_store_b128 v12, v[6:9]
	v_or_b32_e32 v1, 0x1000, v10
	s_wait_dscnt 0x0
	s_barrier_signal -1
	s_barrier_wait -1
	s_delay_alu instid0(VALU_DEP_1)
	v_add_nc_u32_e32 v24, -8, v1
	s_and_saveexec_b32 s4, s3
	s_cbranch_execz .LBB81_7
; %bb.4:
	ds_load_b64 v[18:19], v24
	s_mov_b32 s5, exec_lo
	s_wait_dscnt 0x0
	v_cmpx_eq_u64_e64 v[14:15], v[18:19]
	s_cbranch_execz .LBB81_6
; %bb.5:
	v_add_nc_u32_e32 v11, -16, v12
	ds_load_b128 v[18:21], v11
	s_wait_dscnt 0x0
	v_add_f64_e32 v[6:7], v[6:7], v[18:19]
	v_add_f64_e32 v[8:9], v[8:9], v[20:21]
.LBB81_6:
	s_or_b32 exec_lo, exec_lo, s5
.LBB81_7:
	s_delay_alu instid0(SALU_CYCLE_1)
	s_or_b32 exec_lo, exec_lo, s4
	v_cmp_lt_u32_e64 s4, 1, v0
	v_add_nc_u32_e32 v25, -16, v1
	s_barrier_signal -1
	s_barrier_wait -1
	ds_store_b128 v12, v[6:9]
	s_wait_dscnt 0x0
	s_barrier_signal -1
	s_barrier_wait -1
	s_and_saveexec_b32 s5, s4
	s_cbranch_execz .LBB81_11
; %bb.8:
	ds_load_b64 v[18:19], v25
	s_mov_b32 s6, exec_lo
	s_wait_dscnt 0x0
	v_cmpx_eq_u64_e64 v[14:15], v[18:19]
	s_cbranch_execz .LBB81_10
; %bb.9:
	v_subrev_nc_u32_e32 v11, 32, v12
	ds_load_b128 v[18:21], v11
	s_wait_dscnt 0x0
	v_add_f64_e32 v[6:7], v[6:7], v[18:19]
	v_add_f64_e32 v[8:9], v[8:9], v[20:21]
.LBB81_10:
	s_or_b32 exec_lo, exec_lo, s6
.LBB81_11:
	s_delay_alu instid0(SALU_CYCLE_1)
	s_or_b32 exec_lo, exec_lo, s5
	v_cmp_lt_u32_e64 s5, 3, v0
	v_subrev_nc_u32_e32 v26, 32, v1
	s_barrier_signal -1
	s_barrier_wait -1
	ds_store_b128 v12, v[6:9]
	s_wait_dscnt 0x0
	s_barrier_signal -1
	s_barrier_wait -1
	s_and_saveexec_b32 s6, s5
	s_cbranch_execz .LBB81_15
; %bb.12:
	ds_load_b64 v[18:19], v26
	s_mov_b32 s7, exec_lo
	s_wait_dscnt 0x0
	v_cmpx_eq_u64_e64 v[14:15], v[18:19]
	s_cbranch_execz .LBB81_14
; %bb.13:
	v_subrev_nc_u32_e32 v11, 64, v12
	ds_load_b128 v[18:21], v11
	s_wait_dscnt 0x0
	v_add_f64_e32 v[6:7], v[6:7], v[18:19]
	v_add_f64_e32 v[8:9], v[8:9], v[20:21]
.LBB81_14:
	s_or_b32 exec_lo, exec_lo, s7
.LBB81_15:
	s_delay_alu instid0(SALU_CYCLE_1)
	s_or_b32 exec_lo, exec_lo, s6
	v_cmp_lt_u32_e64 s6, 7, v0
	v_subrev_nc_u32_e32 v27, 64, v1
	s_barrier_signal -1
	s_barrier_wait -1
	ds_store_b128 v12, v[6:9]
	s_wait_dscnt 0x0
	s_barrier_signal -1
	s_barrier_wait -1
	s_and_saveexec_b32 s7, s6
	s_cbranch_execz .LBB81_19
; %bb.16:
	ds_load_b64 v[18:19], v27
	s_mov_b32 s8, exec_lo
	s_wait_dscnt 0x0
	v_cmpx_eq_u64_e64 v[14:15], v[18:19]
	s_cbranch_execz .LBB81_18
; %bb.17:
	v_add_nc_u32_e32 v11, 0xffffff80, v12
	ds_load_b128 v[18:21], v11
	s_wait_dscnt 0x0
	v_add_f64_e32 v[6:7], v[6:7], v[18:19]
	v_add_f64_e32 v[8:9], v[8:9], v[20:21]
.LBB81_18:
	s_or_b32 exec_lo, exec_lo, s8
.LBB81_19:
	s_delay_alu instid0(SALU_CYCLE_1)
	s_or_b32 exec_lo, exec_lo, s7
	v_cmp_lt_u32_e64 s7, 15, v0
	v_add_nc_u32_e32 v28, 0xffffff80, v1
	s_barrier_signal -1
	s_barrier_wait -1
	ds_store_b128 v12, v[6:9]
	s_wait_dscnt 0x0
	s_barrier_signal -1
	s_barrier_wait -1
	s_and_saveexec_b32 s8, s7
	s_cbranch_execz .LBB81_23
; %bb.20:
	ds_load_b64 v[18:19], v28
	s_mov_b32 s9, exec_lo
	s_wait_dscnt 0x0
	v_cmpx_eq_u64_e64 v[14:15], v[18:19]
	s_cbranch_execz .LBB81_22
; %bb.21:
	v_add_nc_u32_e32 v11, 0xffffff00, v12
	ds_load_b128 v[18:21], v11
	s_wait_dscnt 0x0
	v_add_f64_e32 v[6:7], v[6:7], v[18:19]
	v_add_f64_e32 v[8:9], v[8:9], v[20:21]
.LBB81_22:
	s_or_b32 exec_lo, exec_lo, s9
.LBB81_23:
	s_delay_alu instid0(SALU_CYCLE_1)
	s_or_b32 exec_lo, exec_lo, s8
	v_cmp_lt_u32_e64 s8, 31, v0
	v_add_nc_u32_e32 v29, 0xffffff00, v1
	;; [unrolled: 27-line block ×4, first 2 shown]
	s_barrier_signal -1
	s_barrier_wait -1
	ds_store_b128 v12, v[6:9]
	s_wait_dscnt 0x0
	s_barrier_signal -1
	s_barrier_wait -1
	s_and_saveexec_b32 s11, s10
	s_cbranch_execz .LBB81_35
; %bb.32:
	ds_load_b64 v[18:19], v31
	s_mov_b32 s12, exec_lo
	s_wait_dscnt 0x0
	v_cmpx_eq_u64_e64 v[14:15], v[18:19]
	s_cbranch_execz .LBB81_34
; %bb.33:
	v_add_nc_u32_e32 v11, 0xfffff800, v12
	ds_load_b128 v[18:21], v11
	s_wait_dscnt 0x0
	v_add_f64_e32 v[6:7], v[6:7], v[18:19]
	v_add_f64_e32 v[8:9], v[8:9], v[20:21]
.LBB81_34:
	s_or_b32 exec_lo, exec_lo, s12
.LBB81_35:
	s_delay_alu instid0(SALU_CYCLE_1)
	s_or_b32 exec_lo, exec_lo, s11
	s_load_b64 s[26:27], s[0:1], 0x38
	v_cmp_gt_u32_e64 s11, 0xff, v0
	s_barrier_signal -1
	s_barrier_wait -1
	ds_store_b128 v12, v[6:9]
	s_wait_dscnt 0x0
	s_barrier_signal -1
	s_barrier_wait -1
	s_and_saveexec_b32 s13, s11
	s_cbranch_execz .LBB81_38
; %bb.36:
	ds_load_b64 v[18:19], v1 offset:8
	v_cmp_lt_i64_e64 s12, -1, v[14:15]
	s_wait_dscnt 0x0
	v_cmp_ne_u64_e32 vcc_lo, v[14:15], v[18:19]
	s_and_b32 s12, s12, vcc_lo
	s_delay_alu instid0(SALU_CYCLE_1)
	s_and_b32 exec_lo, exec_lo, s12
	s_cbranch_execz .LBB81_38
; %bb.37:
	s_wait_kmcnt 0x0
	v_lshl_add_u64 v[22:23], v[14:15], 4, s[26:27]
	global_load_b128 v[18:21], v[22:23], off
	s_wait_loadcnt 0x0
	v_fmac_f64_e32 v[18:19], v[2:3], v[6:7]
	v_fmac_f64_e32 v[20:21], v[4:5], v[6:7]
	s_delay_alu instid0(VALU_DEP_2) | instskip(NEXT) | instid1(VALU_DEP_2)
	v_fma_f64 v[18:19], -v[4:5], v[8:9], v[18:19]
	v_fmac_f64_e32 v[20:21], v[2:3], v[8:9]
	global_store_b128 v[22:23], v[18:21], off
.LBB81_38:
	s_wait_xcnt 0x0
	s_or_b32 exec_lo, exec_lo, s13
	v_cmp_lt_i64_e64 s12, s[18:19], 2
	s_and_b32 vcc_lo, exec_lo, s12
	s_cbranch_vccnz .LBB81_85
; %bb.39:
	v_dual_mov_b32 v11, 0 :: v_dual_add_nc_u32 v32, -16, v12
	s_lshl_b64 s[34:35], s[30:31], 11
	s_lshl_b64 s[30:31], s[30:31], 12
	s_add_nc_u64 s[22:23], s[22:23], s[34:35]
	s_delay_alu instid0(VALU_DEP_1) | instskip(SKIP_3) | instid1(VALU_DEP_3)
	v_dual_mov_b32 v13, v11 :: v_dual_add_nc_u32 v34, 0xffffff00, v12
	s_add_nc_u64 s[20:21], s[20:21], s[30:31]
	v_add_nc_u64_e32 v[6:7], s[22:23], v[10:11]
	v_add_nc_u64_e32 v[16:17], 0x100, v[16:17]
	;; [unrolled: 1-line block ×3, first 2 shown]
	s_ashr_i32 s13, s14, 31
	s_mov_b32 s12, s14
	v_subrev_nc_u32_e32 v10, 32, v12
	v_subrev_nc_u32_e32 v13, 64, v12
	v_add_nc_u64_e32 v[18:19], 0x804, v[6:7]
	v_add_nc_u32_e32 v33, 0xffffff80, v12
	v_add_nc_u64_e32 v[20:21], 0x1000, v[8:9]
	v_add_nc_u32_e32 v35, 0xfffffe00, v12
	v_add_nc_u32_e32 v36, 0xfffffc00, v12
	;; [unrolled: 1-line block ×3, first 2 shown]
	s_lshl_b64 s[12:13], s[12:13], 4
	s_add_nc_u64 s[18:19], s[18:19], -1
	s_mov_b32 s15, 0
	s_sub_nc_u64 s[20:21], s[28:29], s[12:13]
	s_mov_b64 s[22:23], 0
	s_branch .LBB81_41
.LBB81_40:                              ;   in Loop: Header=BB81_41 Depth=1
	s_wait_xcnt 0x0
	s_or_b32 exec_lo, exec_lo, s13
	s_add_nc_u64 s[22:23], s[22:23], 1
	v_add_nc_u64_e32 v[18:19], 0x800, v[18:19]
	v_cmp_le_u64_e64 s12, s[18:19], s[22:23]
	v_add_nc_u64_e32 v[20:21], 0x1000, v[20:21]
	v_add_nc_u64_e32 v[16:17], 0x100, v[16:17]
	s_and_b32 vcc_lo, exec_lo, s12
	s_cbranch_vccnz .LBB81_85
.LBB81_41:                              ; =>This Inner Loop Header: Depth=1
	v_mov_b64_e32 v[14:15], -1
	v_mov_b64_e32 v[6:7], 0
	v_mov_b64_e32 v[8:9], 0
	s_mov_b32 s12, exec_lo
	v_cmpx_gt_i64_e64 s[16:17], v[16:17]
	s_cbranch_execz .LBB81_43
; %bb.42:                               ;   in Loop: Header=BB81_41 Depth=1
	global_load_b128 v[38:41], v[20:21], off th:TH_LOAD_NT
	global_load_b64 v[6:7], v[18:19], off offset:-4 th:TH_LOAD_NT
	s_wait_loadcnt 0x1
	v_lshl_add_u64 v[8:9], v[40:41], 4, s[20:21]
	s_wait_loadcnt 0x0
	v_cvt_f64_f32_e32 v[14:15], v7
	v_cvt_f64_f32_e32 v[22:23], v6
	global_load_b128 v[40:43], v[8:9], off
	s_wait_loadcnt 0x0
	v_mul_f64_e64 v[6:7], v[42:43], -v[14:15]
	s_wait_xcnt 0x0
	v_mul_f64_e32 v[8:9], v[42:43], v[22:23]
	s_delay_alu instid0(VALU_DEP_2) | instskip(NEXT) | instid1(VALU_DEP_2)
	v_fmac_f64_e32 v[6:7], v[22:23], v[40:41]
	v_fmac_f64_e32 v[8:9], v[14:15], v[40:41]
	v_sub_nc_u64_e64 v[14:15], v[38:39], s[14:15]
.LBB81_43:                              ;   in Loop: Header=BB81_41 Depth=1
	s_or_b32 exec_lo, exec_lo, s12
	s_and_saveexec_b32 s12, s2
	s_cbranch_execz .LBB81_50
; %bb.44:                               ;   in Loop: Header=BB81_41 Depth=1
	ds_load_b64 v[22:23], v11 offset:6136
	s_mov_b32 s13, exec_lo
	s_wait_dscnt 0x0
	v_cmpx_ne_u64_e64 v[14:15], v[22:23]
	s_xor_b32 s13, exec_lo, s13
	s_cbranch_execz .LBB81_47
; %bb.45:                               ;   in Loop: Header=BB81_41 Depth=1
	v_cmp_gt_i64_e32 vcc_lo, 0, v[22:23]
	s_cbranch_vccnz .LBB81_47
; %bb.46:                               ;   in Loop: Header=BB81_41 Depth=1
	v_lshlrev_b64_e32 v[22:23], 4, v[22:23]
	ds_load_b128 v[42:45], v11 offset:4080
	s_wait_kmcnt 0x0
	v_add_nc_u64_e32 v[22:23], s[26:27], v[22:23]
	global_load_b128 v[38:41], v[22:23], off
	s_wait_loadcnt_dscnt 0x0
	v_fmac_f64_e32 v[38:39], v[2:3], v[42:43]
	v_fmac_f64_e32 v[40:41], v[4:5], v[42:43]
	s_delay_alu instid0(VALU_DEP_2) | instskip(NEXT) | instid1(VALU_DEP_2)
	v_fma_f64 v[38:39], -v[4:5], v[44:45], v[38:39]
	v_fmac_f64_e32 v[40:41], v[2:3], v[44:45]
	global_store_b128 v[22:23], v[38:41], off
.LBB81_47:                              ;   in Loop: Header=BB81_41 Depth=1
	s_wait_xcnt 0x0
	s_and_not1_saveexec_b32 s13, s13
	s_cbranch_execz .LBB81_49
; %bb.48:                               ;   in Loop: Header=BB81_41 Depth=1
	ds_load_b128 v[38:41], v11 offset:4080
	s_wait_dscnt 0x0
	v_add_f64_e32 v[6:7], v[6:7], v[38:39]
	v_add_f64_e32 v[8:9], v[8:9], v[40:41]
.LBB81_49:                              ;   in Loop: Header=BB81_41 Depth=1
	s_or_b32 exec_lo, exec_lo, s13
.LBB81_50:                              ;   in Loop: Header=BB81_41 Depth=1
	s_delay_alu instid0(SALU_CYCLE_1)
	s_or_b32 exec_lo, exec_lo, s12
	s_wait_storecnt 0x0
	s_barrier_signal -1
	s_barrier_wait -1
	ds_store_b64 v1, v[14:15]
	ds_store_b128 v12, v[6:9]
	s_wait_dscnt 0x0
	s_barrier_signal -1
	s_barrier_wait -1
	s_and_saveexec_b32 s12, s3
	s_cbranch_execz .LBB81_54
; %bb.51:                               ;   in Loop: Header=BB81_41 Depth=1
	ds_load_b64 v[22:23], v24
	s_mov_b32 s13, exec_lo
	s_wait_dscnt 0x0
	v_cmpx_eq_u64_e64 v[14:15], v[22:23]
	s_cbranch_execz .LBB81_53
; %bb.52:                               ;   in Loop: Header=BB81_41 Depth=1
	ds_load_b128 v[38:41], v32
	s_wait_dscnt 0x0
	v_add_f64_e32 v[6:7], v[6:7], v[38:39]
	v_add_f64_e32 v[8:9], v[8:9], v[40:41]
.LBB81_53:                              ;   in Loop: Header=BB81_41 Depth=1
	s_or_b32 exec_lo, exec_lo, s13
.LBB81_54:                              ;   in Loop: Header=BB81_41 Depth=1
	s_delay_alu instid0(SALU_CYCLE_1)
	s_or_b32 exec_lo, exec_lo, s12
	s_barrier_signal -1
	s_barrier_wait -1
	ds_store_b128 v12, v[6:9]
	s_wait_dscnt 0x0
	s_barrier_signal -1
	s_barrier_wait -1
	s_and_saveexec_b32 s12, s4
	s_cbranch_execz .LBB81_58
; %bb.55:                               ;   in Loop: Header=BB81_41 Depth=1
	ds_load_b64 v[22:23], v25
	s_mov_b32 s13, exec_lo
	s_wait_dscnt 0x0
	v_cmpx_eq_u64_e64 v[14:15], v[22:23]
	s_cbranch_execz .LBB81_57
; %bb.56:                               ;   in Loop: Header=BB81_41 Depth=1
	ds_load_b128 v[38:41], v10
	s_wait_dscnt 0x0
	v_add_f64_e32 v[6:7], v[6:7], v[38:39]
	v_add_f64_e32 v[8:9], v[8:9], v[40:41]
.LBB81_57:                              ;   in Loop: Header=BB81_41 Depth=1
	s_or_b32 exec_lo, exec_lo, s13
.LBB81_58:                              ;   in Loop: Header=BB81_41 Depth=1
	s_delay_alu instid0(SALU_CYCLE_1)
	s_or_b32 exec_lo, exec_lo, s12
	s_barrier_signal -1
	s_barrier_wait -1
	;; [unrolled: 24-line block ×8, first 2 shown]
	ds_store_b128 v12, v[6:9]
	s_wait_dscnt 0x0
	s_barrier_signal -1
	s_barrier_wait -1
	s_and_saveexec_b32 s13, s11
	s_cbranch_execz .LBB81_40
; %bb.83:                               ;   in Loop: Header=BB81_41 Depth=1
	ds_load_b64 v[22:23], v1 offset:8
	v_cmp_lt_i64_e64 s12, -1, v[14:15]
	s_wait_dscnt 0x0
	v_cmp_ne_u64_e32 vcc_lo, v[14:15], v[22:23]
	s_and_b32 s12, s12, vcc_lo
	s_delay_alu instid0(SALU_CYCLE_1)
	s_and_b32 exec_lo, exec_lo, s12
	s_cbranch_execz .LBB81_40
; %bb.84:                               ;   in Loop: Header=BB81_41 Depth=1
	s_wait_kmcnt 0x0
	v_lshl_add_u64 v[22:23], v[14:15], 4, s[26:27]
	global_load_b128 v[38:41], v[22:23], off
	s_wait_loadcnt 0x0
	v_fmac_f64_e32 v[38:39], v[2:3], v[6:7]
	v_fmac_f64_e32 v[40:41], v[4:5], v[6:7]
	s_delay_alu instid0(VALU_DEP_2) | instskip(NEXT) | instid1(VALU_DEP_2)
	v_fma_f64 v[38:39], -v[4:5], v[8:9], v[38:39]
	v_fmac_f64_e32 v[40:41], v[2:3], v[8:9]
	global_store_b128 v[22:23], v[38:41], off
	s_branch .LBB81_40
.LBB81_85:
	s_load_b128 s[4:7], s[0:1], 0x40
	v_cmp_eq_u32_e32 vcc_lo, 0xff, v0
	s_and_b32 exec_lo, exec_lo, vcc_lo
	s_cbranch_execz .LBB81_87
; %bb.86:
	v_dual_mul_f64 v[10:11], v[8:9], -v[4:5] :: v_dual_mov_b32 v0, 0
	v_mul_f64_e32 v[12:13], v[2:3], v[8:9]
	s_wait_xcnt 0x0
	s_lshl_b64 s[0:1], s[24:25], 3
	s_lshl_b64 s[2:3], s[24:25], 4
	s_wait_kmcnt 0x0
	s_add_nc_u64 s[0:1], s[4:5], s[0:1]
	s_add_nc_u64 s[2:3], s[6:7], s[2:3]
	s_delay_alu instid0(VALU_DEP_2) | instskip(NEXT) | instid1(VALU_DEP_2)
	v_fmac_f64_e32 v[10:11], v[2:3], v[6:7]
	v_fmac_f64_e32 v[12:13], v[4:5], v[6:7]
	s_clause 0x1
	global_store_b64 v0, v[14:15], s[0:1] th:TH_STORE_NT
	global_store_b128 v0, v[10:13], s[2:3] th:TH_STORE_NT
.LBB81_87:
	s_endpgm
	.section	.rodata,"a",@progbits
	.p2align	6, 0x0
	.amdhsa_kernel _ZN9rocsparseL26coomvn_aos_segmented_loopsILj256El21rocsparse_complex_numIfES1_IdES3_S3_EEvlT0_NS_24const_host_device_scalarIT4_EEPKS4_PKT1_PKT2_PT3_PS4_PS6_21rocsparse_index_base_b
		.amdhsa_group_segment_fixed_size 6144
		.amdhsa_private_segment_fixed_size 0
		.amdhsa_kernarg_size 88
		.amdhsa_user_sgpr_count 2
		.amdhsa_user_sgpr_dispatch_ptr 0
		.amdhsa_user_sgpr_queue_ptr 0
		.amdhsa_user_sgpr_kernarg_segment_ptr 1
		.amdhsa_user_sgpr_dispatch_id 0
		.amdhsa_user_sgpr_kernarg_preload_length 0
		.amdhsa_user_sgpr_kernarg_preload_offset 0
		.amdhsa_user_sgpr_private_segment_size 0
		.amdhsa_wavefront_size32 1
		.amdhsa_uses_dynamic_stack 0
		.amdhsa_enable_private_segment 0
		.amdhsa_system_sgpr_workgroup_id_x 1
		.amdhsa_system_sgpr_workgroup_id_y 0
		.amdhsa_system_sgpr_workgroup_id_z 0
		.amdhsa_system_sgpr_workgroup_info 0
		.amdhsa_system_vgpr_workitem_id 0
		.amdhsa_next_free_vgpr 46
		.amdhsa_next_free_sgpr 36
		.amdhsa_named_barrier_count 0
		.amdhsa_reserve_vcc 1
		.amdhsa_float_round_mode_32 0
		.amdhsa_float_round_mode_16_64 0
		.amdhsa_float_denorm_mode_32 3
		.amdhsa_float_denorm_mode_16_64 3
		.amdhsa_fp16_overflow 0
		.amdhsa_memory_ordered 1
		.amdhsa_forward_progress 1
		.amdhsa_inst_pref_size 24
		.amdhsa_round_robin_scheduling 0
		.amdhsa_exception_fp_ieee_invalid_op 0
		.amdhsa_exception_fp_denorm_src 0
		.amdhsa_exception_fp_ieee_div_zero 0
		.amdhsa_exception_fp_ieee_overflow 0
		.amdhsa_exception_fp_ieee_underflow 0
		.amdhsa_exception_fp_ieee_inexact 0
		.amdhsa_exception_int_div_zero 0
	.end_amdhsa_kernel
	.section	.text._ZN9rocsparseL26coomvn_aos_segmented_loopsILj256El21rocsparse_complex_numIfES1_IdES3_S3_EEvlT0_NS_24const_host_device_scalarIT4_EEPKS4_PKT1_PKT2_PT3_PS4_PS6_21rocsparse_index_base_b,"axG",@progbits,_ZN9rocsparseL26coomvn_aos_segmented_loopsILj256El21rocsparse_complex_numIfES1_IdES3_S3_EEvlT0_NS_24const_host_device_scalarIT4_EEPKS4_PKT1_PKT2_PT3_PS4_PS6_21rocsparse_index_base_b,comdat
.Lfunc_end81:
	.size	_ZN9rocsparseL26coomvn_aos_segmented_loopsILj256El21rocsparse_complex_numIfES1_IdES3_S3_EEvlT0_NS_24const_host_device_scalarIT4_EEPKS4_PKT1_PKT2_PT3_PS4_PS6_21rocsparse_index_base_b, .Lfunc_end81-_ZN9rocsparseL26coomvn_aos_segmented_loopsILj256El21rocsparse_complex_numIfES1_IdES3_S3_EEvlT0_NS_24const_host_device_scalarIT4_EEPKS4_PKT1_PKT2_PT3_PS4_PS6_21rocsparse_index_base_b
                                        ; -- End function
	.set _ZN9rocsparseL26coomvn_aos_segmented_loopsILj256El21rocsparse_complex_numIfES1_IdES3_S3_EEvlT0_NS_24const_host_device_scalarIT4_EEPKS4_PKT1_PKT2_PT3_PS4_PS6_21rocsparse_index_base_b.num_vgpr, 46
	.set _ZN9rocsparseL26coomvn_aos_segmented_loopsILj256El21rocsparse_complex_numIfES1_IdES3_S3_EEvlT0_NS_24const_host_device_scalarIT4_EEPKS4_PKT1_PKT2_PT3_PS4_PS6_21rocsparse_index_base_b.num_agpr, 0
	.set _ZN9rocsparseL26coomvn_aos_segmented_loopsILj256El21rocsparse_complex_numIfES1_IdES3_S3_EEvlT0_NS_24const_host_device_scalarIT4_EEPKS4_PKT1_PKT2_PT3_PS4_PS6_21rocsparse_index_base_b.numbered_sgpr, 36
	.set _ZN9rocsparseL26coomvn_aos_segmented_loopsILj256El21rocsparse_complex_numIfES1_IdES3_S3_EEvlT0_NS_24const_host_device_scalarIT4_EEPKS4_PKT1_PKT2_PT3_PS4_PS6_21rocsparse_index_base_b.num_named_barrier, 0
	.set _ZN9rocsparseL26coomvn_aos_segmented_loopsILj256El21rocsparse_complex_numIfES1_IdES3_S3_EEvlT0_NS_24const_host_device_scalarIT4_EEPKS4_PKT1_PKT2_PT3_PS4_PS6_21rocsparse_index_base_b.private_seg_size, 0
	.set _ZN9rocsparseL26coomvn_aos_segmented_loopsILj256El21rocsparse_complex_numIfES1_IdES3_S3_EEvlT0_NS_24const_host_device_scalarIT4_EEPKS4_PKT1_PKT2_PT3_PS4_PS6_21rocsparse_index_base_b.uses_vcc, 1
	.set _ZN9rocsparseL26coomvn_aos_segmented_loopsILj256El21rocsparse_complex_numIfES1_IdES3_S3_EEvlT0_NS_24const_host_device_scalarIT4_EEPKS4_PKT1_PKT2_PT3_PS4_PS6_21rocsparse_index_base_b.uses_flat_scratch, 0
	.set _ZN9rocsparseL26coomvn_aos_segmented_loopsILj256El21rocsparse_complex_numIfES1_IdES3_S3_EEvlT0_NS_24const_host_device_scalarIT4_EEPKS4_PKT1_PKT2_PT3_PS4_PS6_21rocsparse_index_base_b.has_dyn_sized_stack, 0
	.set _ZN9rocsparseL26coomvn_aos_segmented_loopsILj256El21rocsparse_complex_numIfES1_IdES3_S3_EEvlT0_NS_24const_host_device_scalarIT4_EEPKS4_PKT1_PKT2_PT3_PS4_PS6_21rocsparse_index_base_b.has_recursion, 0
	.set _ZN9rocsparseL26coomvn_aos_segmented_loopsILj256El21rocsparse_complex_numIfES1_IdES3_S3_EEvlT0_NS_24const_host_device_scalarIT4_EEPKS4_PKT1_PKT2_PT3_PS4_PS6_21rocsparse_index_base_b.has_indirect_call, 0
	.section	.AMDGPU.csdata,"",@progbits
; Kernel info:
; codeLenInByte = 3028
; TotalNumSgprs: 38
; NumVgprs: 46
; ScratchSize: 0
; MemoryBound: 0
; FloatMode: 240
; IeeeMode: 1
; LDSByteSize: 6144 bytes/workgroup (compile time only)
; SGPRBlocks: 0
; VGPRBlocks: 2
; NumSGPRsForWavesPerEU: 38
; NumVGPRsForWavesPerEU: 46
; NamedBarCnt: 0
; Occupancy: 16
; WaveLimiterHint : 1
; COMPUTE_PGM_RSRC2:SCRATCH_EN: 0
; COMPUTE_PGM_RSRC2:USER_SGPR: 2
; COMPUTE_PGM_RSRC2:TRAP_HANDLER: 0
; COMPUTE_PGM_RSRC2:TGID_X_EN: 1
; COMPUTE_PGM_RSRC2:TGID_Y_EN: 0
; COMPUTE_PGM_RSRC2:TGID_Z_EN: 0
; COMPUTE_PGM_RSRC2:TIDIG_COMP_CNT: 0
	.section	.AMDGPU.gpr_maximums,"",@progbits
	.set amdgpu.max_num_vgpr, 0
	.set amdgpu.max_num_agpr, 0
	.set amdgpu.max_num_sgpr, 0
	.section	.AMDGPU.csdata,"",@progbits
	.type	__hip_cuid_c566b860070fca56,@object ; @__hip_cuid_c566b860070fca56
	.section	.bss,"aw",@nobits
	.globl	__hip_cuid_c566b860070fca56
__hip_cuid_c566b860070fca56:
	.byte	0                               ; 0x0
	.size	__hip_cuid_c566b860070fca56, 1

	.ident	"AMD clang version 22.0.0git (https://github.com/RadeonOpenCompute/llvm-project roc-7.2.4 26084 f58b06dce1f9c15707c5f808fd002e18c2accf7e)"
	.section	".note.GNU-stack","",@progbits
	.addrsig
	.addrsig_sym __hip_cuid_c566b860070fca56
	.amdgpu_metadata
---
amdhsa.kernels:
  - .args:
      - .offset:         0
        .size:           8
        .value_kind:     by_value
      - .offset:         8
        .size:           8
        .value_kind:     by_value
      - .actual_access:  read_only
        .address_space:  global
        .offset:         16
        .size:           8
        .value_kind:     global_buffer
      - .actual_access:  read_only
        .address_space:  global
        .offset:         24
        .size:           8
        .value_kind:     global_buffer
      - .actual_access:  read_only
        .address_space:  global
        .offset:         32
        .size:           8
        .value_kind:     global_buffer
      - .address_space:  global
        .offset:         40
        .size:           8
        .value_kind:     global_buffer
      - .offset:         48
        .size:           4
        .value_kind:     by_value
      - .offset:         52
        .size:           1
        .value_kind:     by_value
    .group_segment_fixed_size: 2048
    .kernarg_segment_align: 8
    .kernarg_segment_size: 56
    .language:       OpenCL C
    .language_version:
      - 2
      - 0
    .max_flat_workgroup_size: 256
    .name:           _ZN9rocsparseL23coomvn_aos_atomic_loopsILj256ELj1EiffffEEvlNS_24const_host_device_scalarIT5_EEPKT1_PKT2_PKT3_PT4_21rocsparse_index_base_b
    .private_segment_fixed_size: 0
    .sgpr_count:     14
    .sgpr_spill_count: 0
    .symbol:         _ZN9rocsparseL23coomvn_aos_atomic_loopsILj256ELj1EiffffEEvlNS_24const_host_device_scalarIT5_EEPKT1_PKT2_PKT3_PT4_21rocsparse_index_base_b.kd
    .uniform_work_group_size: 1
    .uses_dynamic_stack: false
    .vgpr_count:     7
    .vgpr_spill_count: 0
    .wavefront_size: 32
  - .args:
      - .offset:         0
        .size:           4
        .value_kind:     by_value
      - .offset:         8
        .size:           8
        .value_kind:     by_value
      - .offset:         16
        .size:           8
        .value_kind:     by_value
      - .actual_access:  read_only
        .address_space:  global
        .offset:         24
        .size:           8
        .value_kind:     global_buffer
      - .actual_access:  read_only
        .address_space:  global
        .offset:         32
        .size:           8
        .value_kind:     global_buffer
      - .actual_access:  read_only
        .address_space:  global
        .offset:         40
        .size:           8
        .value_kind:     global_buffer
      - .address_space:  global
        .offset:         48
        .size:           8
        .value_kind:     global_buffer
      - .offset:         56
        .size:           4
        .value_kind:     by_value
      - .offset:         60
        .size:           1
        .value_kind:     by_value
      - .offset:         64
        .size:           4
        .value_kind:     hidden_block_count_x
      - .offset:         68
        .size:           4
        .value_kind:     hidden_block_count_y
      - .offset:         72
        .size:           4
        .value_kind:     hidden_block_count_z
      - .offset:         76
        .size:           2
        .value_kind:     hidden_group_size_x
      - .offset:         78
        .size:           2
        .value_kind:     hidden_group_size_y
      - .offset:         80
        .size:           2
        .value_kind:     hidden_group_size_z
      - .offset:         82
        .size:           2
        .value_kind:     hidden_remainder_x
      - .offset:         84
        .size:           2
        .value_kind:     hidden_remainder_y
      - .offset:         86
        .size:           2
        .value_kind:     hidden_remainder_z
      - .offset:         104
        .size:           8
        .value_kind:     hidden_global_offset_x
      - .offset:         112
        .size:           8
        .value_kind:     hidden_global_offset_y
      - .offset:         120
        .size:           8
        .value_kind:     hidden_global_offset_z
      - .offset:         128
        .size:           2
        .value_kind:     hidden_grid_dims
    .group_segment_fixed_size: 0
    .kernarg_segment_align: 8
    .kernarg_segment_size: 320
    .language:       OpenCL C
    .language_version:
      - 2
      - 0
    .max_flat_workgroup_size: 1024
    .name:           _ZN9rocsparseL17coomvt_aos_kernelILj1024EiffffEEv20rocsparse_operation_lNS_24const_host_device_scalarIT4_EEPKT0_PKT1_PKT2_PT3_21rocsparse_index_base_b
    .private_segment_fixed_size: 0
    .sgpr_count:     18
    .sgpr_spill_count: 0
    .symbol:         _ZN9rocsparseL17coomvt_aos_kernelILj1024EiffffEEv20rocsparse_operation_lNS_24const_host_device_scalarIT4_EEPKT0_PKT1_PKT2_PT3_21rocsparse_index_base_b.kd
    .uniform_work_group_size: 1
    .uses_dynamic_stack: false
    .vgpr_count:     6
    .vgpr_spill_count: 0
    .wavefront_size: 32
  - .args:
      - .offset:         0
        .size:           8
        .value_kind:     by_value
      - .offset:         8
        .size:           4
        .value_kind:     by_value
      - .offset:         16
        .size:           8
        .value_kind:     by_value
      - .actual_access:  read_only
        .address_space:  global
        .offset:         24
        .size:           8
        .value_kind:     global_buffer
      - .actual_access:  read_only
        .address_space:  global
        .offset:         32
        .size:           8
        .value_kind:     global_buffer
      - .actual_access:  read_only
        .address_space:  global
        .offset:         40
        .size:           8
        .value_kind:     global_buffer
      - .address_space:  global
        .offset:         48
        .size:           8
        .value_kind:     global_buffer
      - .actual_access:  write_only
        .address_space:  global
        .offset:         56
        .size:           8
        .value_kind:     global_buffer
      - .actual_access:  write_only
        .address_space:  global
        .offset:         64
        .size:           8
        .value_kind:     global_buffer
      - .offset:         72
        .size:           4
        .value_kind:     by_value
      - .offset:         76
        .size:           1
        .value_kind:     by_value
    .group_segment_fixed_size: 2048
    .kernarg_segment_align: 8
    .kernarg_segment_size: 80
    .language:       OpenCL C
    .language_version:
      - 2
      - 0
    .max_flat_workgroup_size: 256
    .name:           _ZN9rocsparseL26coomvn_aos_segmented_loopsILj256EiffffEEvlT0_NS_24const_host_device_scalarIT4_EEPKS1_PKT1_PKT2_PT3_PS1_PS3_21rocsparse_index_base_b
    .private_segment_fixed_size: 0
    .sgpr_count:     30
    .sgpr_spill_count: 0
    .symbol:         _ZN9rocsparseL26coomvn_aos_segmented_loopsILj256EiffffEEvlT0_NS_24const_host_device_scalarIT4_EEPKS1_PKT1_PKT2_PT3_PS1_PS3_21rocsparse_index_base_b.kd
    .uniform_work_group_size: 1
    .uses_dynamic_stack: false
    .vgpr_count:     31
    .vgpr_spill_count: 0
    .wavefront_size: 32
  - .args:
      - .offset:         0
        .size:           4
        .value_kind:     by_value
      - .offset:         8
        .size:           8
        .value_kind:     by_value
      - .actual_access:  read_only
        .address_space:  global
        .offset:         16
        .size:           8
        .value_kind:     global_buffer
      - .actual_access:  read_only
        .address_space:  global
        .offset:         24
        .size:           8
        .value_kind:     global_buffer
      - .address_space:  global
        .offset:         32
        .size:           8
        .value_kind:     global_buffer
      - .offset:         40
        .size:           1
        .value_kind:     by_value
    .group_segment_fixed_size: 2048
    .kernarg_segment_align: 8
    .kernarg_segment_size: 44
    .language:       OpenCL C
    .language_version:
      - 2
      - 0
    .max_flat_workgroup_size: 256
    .name:           _ZN9rocsparseL29coomvn_segmented_loops_reduceILj256EiffEEvT0_NS_24const_host_device_scalarIT2_EEPKS1_PKS3_PT1_b
    .private_segment_fixed_size: 0
    .sgpr_count:     21
    .sgpr_spill_count: 0
    .symbol:         _ZN9rocsparseL29coomvn_segmented_loops_reduceILj256EiffEEvT0_NS_24const_host_device_scalarIT2_EEPKS1_PKS3_PT1_b.kd
    .uniform_work_group_size: 1
    .uses_dynamic_stack: false
    .vgpr_count:     23
    .vgpr_spill_count: 0
    .wavefront_size: 32
  - .args:
      - .offset:         0
        .size:           8
        .value_kind:     by_value
      - .offset:         8
        .size:           8
        .value_kind:     by_value
      - .actual_access:  read_only
        .address_space:  global
        .offset:         16
        .size:           8
        .value_kind:     global_buffer
      - .actual_access:  read_only
        .address_space:  global
        .offset:         24
        .size:           8
        .value_kind:     global_buffer
      - .actual_access:  read_only
        .address_space:  global
        .offset:         32
        .size:           8
        .value_kind:     global_buffer
      - .address_space:  global
        .offset:         40
        .size:           8
        .value_kind:     global_buffer
      - .offset:         48
        .size:           4
        .value_kind:     by_value
      - .offset:         52
        .size:           1
        .value_kind:     by_value
    .group_segment_fixed_size: 3072
    .kernarg_segment_align: 8
    .kernarg_segment_size: 56
    .language:       OpenCL C
    .language_version:
      - 2
      - 0
    .max_flat_workgroup_size: 256
    .name:           _ZN9rocsparseL23coomvn_aos_atomic_loopsILj256ELj1ElffffEEvlNS_24const_host_device_scalarIT5_EEPKT1_PKT2_PKT3_PT4_21rocsparse_index_base_b
    .private_segment_fixed_size: 0
    .sgpr_count:     16
    .sgpr_spill_count: 0
    .symbol:         _ZN9rocsparseL23coomvn_aos_atomic_loopsILj256ELj1ElffffEEvlNS_24const_host_device_scalarIT5_EEPKT1_PKT2_PKT3_PT4_21rocsparse_index_base_b.kd
    .uniform_work_group_size: 1
    .uses_dynamic_stack: false
    .vgpr_count:     9
    .vgpr_spill_count: 0
    .wavefront_size: 32
  - .args:
      - .offset:         0
        .size:           4
        .value_kind:     by_value
      - .offset:         8
        .size:           8
        .value_kind:     by_value
      - .offset:         16
        .size:           8
        .value_kind:     by_value
      - .actual_access:  read_only
        .address_space:  global
        .offset:         24
        .size:           8
        .value_kind:     global_buffer
      - .actual_access:  read_only
        .address_space:  global
        .offset:         32
        .size:           8
        .value_kind:     global_buffer
      - .actual_access:  read_only
        .address_space:  global
        .offset:         40
        .size:           8
        .value_kind:     global_buffer
      - .address_space:  global
        .offset:         48
        .size:           8
        .value_kind:     global_buffer
      - .offset:         56
        .size:           4
        .value_kind:     by_value
      - .offset:         60
        .size:           1
        .value_kind:     by_value
      - .offset:         64
        .size:           4
        .value_kind:     hidden_block_count_x
      - .offset:         68
        .size:           4
        .value_kind:     hidden_block_count_y
      - .offset:         72
        .size:           4
        .value_kind:     hidden_block_count_z
      - .offset:         76
        .size:           2
        .value_kind:     hidden_group_size_x
      - .offset:         78
        .size:           2
        .value_kind:     hidden_group_size_y
      - .offset:         80
        .size:           2
        .value_kind:     hidden_group_size_z
      - .offset:         82
        .size:           2
        .value_kind:     hidden_remainder_x
      - .offset:         84
        .size:           2
        .value_kind:     hidden_remainder_y
      - .offset:         86
        .size:           2
        .value_kind:     hidden_remainder_z
      - .offset:         104
        .size:           8
        .value_kind:     hidden_global_offset_x
      - .offset:         112
        .size:           8
        .value_kind:     hidden_global_offset_y
      - .offset:         120
        .size:           8
        .value_kind:     hidden_global_offset_z
      - .offset:         128
        .size:           2
        .value_kind:     hidden_grid_dims
    .group_segment_fixed_size: 0
    .kernarg_segment_align: 8
    .kernarg_segment_size: 320
    .language:       OpenCL C
    .language_version:
      - 2
      - 0
    .max_flat_workgroup_size: 1024
    .name:           _ZN9rocsparseL17coomvt_aos_kernelILj1024ElffffEEv20rocsparse_operation_lNS_24const_host_device_scalarIT4_EEPKT0_PKT1_PKT2_PT3_21rocsparse_index_base_b
    .private_segment_fixed_size: 0
    .sgpr_count:     18
    .sgpr_spill_count: 0
    .symbol:         _ZN9rocsparseL17coomvt_aos_kernelILj1024ElffffEEv20rocsparse_operation_lNS_24const_host_device_scalarIT4_EEPKT0_PKT1_PKT2_PT3_21rocsparse_index_base_b.kd
    .uniform_work_group_size: 1
    .uses_dynamic_stack: false
    .vgpr_count:     7
    .vgpr_spill_count: 0
    .wavefront_size: 32
  - .args:
      - .offset:         0
        .size:           8
        .value_kind:     by_value
      - .offset:         8
        .size:           8
        .value_kind:     by_value
      - .offset:         16
        .size:           8
        .value_kind:     by_value
      - .actual_access:  read_only
        .address_space:  global
        .offset:         24
        .size:           8
        .value_kind:     global_buffer
      - .actual_access:  read_only
        .address_space:  global
        .offset:         32
        .size:           8
        .value_kind:     global_buffer
      - .actual_access:  read_only
        .address_space:  global
        .offset:         40
        .size:           8
        .value_kind:     global_buffer
      - .address_space:  global
        .offset:         48
        .size:           8
        .value_kind:     global_buffer
      - .actual_access:  write_only
        .address_space:  global
        .offset:         56
        .size:           8
        .value_kind:     global_buffer
      - .actual_access:  write_only
        .address_space:  global
        .offset:         64
        .size:           8
        .value_kind:     global_buffer
      - .offset:         72
        .size:           4
        .value_kind:     by_value
      - .offset:         76
        .size:           1
        .value_kind:     by_value
    .group_segment_fixed_size: 3072
    .kernarg_segment_align: 8
    .kernarg_segment_size: 80
    .language:       OpenCL C
    .language_version:
      - 2
      - 0
    .max_flat_workgroup_size: 256
    .name:           _ZN9rocsparseL26coomvn_aos_segmented_loopsILj256ElffffEEvlT0_NS_24const_host_device_scalarIT4_EEPKS1_PKT1_PKT2_PT3_PS1_PS3_21rocsparse_index_base_b
    .private_segment_fixed_size: 0
    .sgpr_count:     40
    .sgpr_spill_count: 0
    .symbol:         _ZN9rocsparseL26coomvn_aos_segmented_loopsILj256ElffffEEvlT0_NS_24const_host_device_scalarIT4_EEPKS1_PKT1_PKT2_PT3_PS1_PS3_21rocsparse_index_base_b.kd
    .uniform_work_group_size: 1
    .uses_dynamic_stack: false
    .vgpr_count:     36
    .vgpr_spill_count: 0
    .wavefront_size: 32
  - .args:
      - .offset:         0
        .size:           8
        .value_kind:     by_value
      - .offset:         8
        .size:           8
        .value_kind:     by_value
      - .actual_access:  read_only
        .address_space:  global
        .offset:         16
        .size:           8
        .value_kind:     global_buffer
      - .actual_access:  read_only
        .address_space:  global
        .offset:         24
        .size:           8
        .value_kind:     global_buffer
      - .address_space:  global
        .offset:         32
        .size:           8
        .value_kind:     global_buffer
      - .offset:         40
        .size:           1
        .value_kind:     by_value
    .group_segment_fixed_size: 3072
    .kernarg_segment_align: 8
    .kernarg_segment_size: 44
    .language:       OpenCL C
    .language_version:
      - 2
      - 0
    .max_flat_workgroup_size: 256
    .name:           _ZN9rocsparseL29coomvn_segmented_loops_reduceILj256ElffEEvT0_NS_24const_host_device_scalarIT2_EEPKS1_PKS3_PT1_b
    .private_segment_fixed_size: 0
    .sgpr_count:     20
    .sgpr_spill_count: 0
    .symbol:         _ZN9rocsparseL29coomvn_segmented_loops_reduceILj256ElffEEvT0_NS_24const_host_device_scalarIT2_EEPKS1_PKS3_PT1_b.kd
    .uniform_work_group_size: 1
    .uses_dynamic_stack: false
    .vgpr_count:     32
    .vgpr_spill_count: 0
    .wavefront_size: 32
  - .args:
      - .offset:         0
        .size:           8
        .value_kind:     by_value
      - .offset:         8
        .size:           8
        .value_kind:     by_value
      - .actual_access:  read_only
        .address_space:  global
        .offset:         16
        .size:           8
        .value_kind:     global_buffer
      - .actual_access:  read_only
        .address_space:  global
        .offset:         24
        .size:           8
        .value_kind:     global_buffer
      - .actual_access:  read_only
        .address_space:  global
        .offset:         32
        .size:           8
        .value_kind:     global_buffer
      - .address_space:  global
        .offset:         40
        .size:           8
        .value_kind:     global_buffer
      - .offset:         48
        .size:           4
        .value_kind:     by_value
      - .offset:         52
        .size:           1
        .value_kind:     by_value
    .group_segment_fixed_size: 3072
    .kernarg_segment_align: 8
    .kernarg_segment_size: 56
    .language:       OpenCL C
    .language_version:
      - 2
      - 0
    .max_flat_workgroup_size: 256
    .name:           _ZN9rocsparseL23coomvn_aos_atomic_loopsILj256ELj1EiddddEEvlNS_24const_host_device_scalarIT5_EEPKT1_PKT2_PKT3_PT4_21rocsparse_index_base_b
    .private_segment_fixed_size: 0
    .sgpr_count:     10
    .sgpr_spill_count: 0
    .symbol:         _ZN9rocsparseL23coomvn_aos_atomic_loopsILj256ELj1EiddddEEvlNS_24const_host_device_scalarIT5_EEPKT1_PKT2_PKT3_PT4_21rocsparse_index_base_b.kd
    .uniform_work_group_size: 1
    .uses_dynamic_stack: false
    .vgpr_count:     12
    .vgpr_spill_count: 0
    .wavefront_size: 32
  - .args:
      - .offset:         0
        .size:           4
        .value_kind:     by_value
      - .offset:         8
        .size:           8
        .value_kind:     by_value
      - .offset:         16
        .size:           8
        .value_kind:     by_value
      - .actual_access:  read_only
        .address_space:  global
        .offset:         24
        .size:           8
        .value_kind:     global_buffer
      - .actual_access:  read_only
        .address_space:  global
        .offset:         32
        .size:           8
        .value_kind:     global_buffer
      - .actual_access:  read_only
        .address_space:  global
        .offset:         40
        .size:           8
        .value_kind:     global_buffer
      - .address_space:  global
        .offset:         48
        .size:           8
        .value_kind:     global_buffer
      - .offset:         56
        .size:           4
        .value_kind:     by_value
      - .offset:         60
        .size:           1
        .value_kind:     by_value
      - .offset:         64
        .size:           4
        .value_kind:     hidden_block_count_x
      - .offset:         68
        .size:           4
        .value_kind:     hidden_block_count_y
      - .offset:         72
        .size:           4
        .value_kind:     hidden_block_count_z
      - .offset:         76
        .size:           2
        .value_kind:     hidden_group_size_x
      - .offset:         78
        .size:           2
        .value_kind:     hidden_group_size_y
      - .offset:         80
        .size:           2
        .value_kind:     hidden_group_size_z
      - .offset:         82
        .size:           2
        .value_kind:     hidden_remainder_x
      - .offset:         84
        .size:           2
        .value_kind:     hidden_remainder_y
      - .offset:         86
        .size:           2
        .value_kind:     hidden_remainder_z
      - .offset:         104
        .size:           8
        .value_kind:     hidden_global_offset_x
      - .offset:         112
        .size:           8
        .value_kind:     hidden_global_offset_y
      - .offset:         120
        .size:           8
        .value_kind:     hidden_global_offset_z
      - .offset:         128
        .size:           2
        .value_kind:     hidden_grid_dims
    .group_segment_fixed_size: 0
    .kernarg_segment_align: 8
    .kernarg_segment_size: 320
    .language:       OpenCL C
    .language_version:
      - 2
      - 0
    .max_flat_workgroup_size: 1024
    .name:           _ZN9rocsparseL17coomvt_aos_kernelILj1024EiddddEEv20rocsparse_operation_lNS_24const_host_device_scalarIT4_EEPKT0_PKT1_PKT2_PT3_21rocsparse_index_base_b
    .private_segment_fixed_size: 0
    .sgpr_count:     14
    .sgpr_spill_count: 0
    .symbol:         _ZN9rocsparseL17coomvt_aos_kernelILj1024EiddddEEv20rocsparse_operation_lNS_24const_host_device_scalarIT4_EEPKT0_PKT1_PKT2_PT3_21rocsparse_index_base_b.kd
    .uniform_work_group_size: 1
    .uses_dynamic_stack: false
    .vgpr_count:     8
    .vgpr_spill_count: 0
    .wavefront_size: 32
  - .args:
      - .offset:         0
        .size:           8
        .value_kind:     by_value
      - .offset:         8
        .size:           4
        .value_kind:     by_value
      - .offset:         16
        .size:           8
        .value_kind:     by_value
      - .actual_access:  read_only
        .address_space:  global
        .offset:         24
        .size:           8
        .value_kind:     global_buffer
      - .actual_access:  read_only
        .address_space:  global
        .offset:         32
        .size:           8
        .value_kind:     global_buffer
      - .actual_access:  read_only
        .address_space:  global
        .offset:         40
        .size:           8
        .value_kind:     global_buffer
      - .address_space:  global
        .offset:         48
        .size:           8
        .value_kind:     global_buffer
      - .actual_access:  write_only
        .address_space:  global
        .offset:         56
        .size:           8
        .value_kind:     global_buffer
      - .actual_access:  write_only
        .address_space:  global
        .offset:         64
        .size:           8
        .value_kind:     global_buffer
      - .offset:         72
        .size:           4
        .value_kind:     by_value
      - .offset:         76
        .size:           1
        .value_kind:     by_value
    .group_segment_fixed_size: 3072
    .kernarg_segment_align: 8
    .kernarg_segment_size: 80
    .language:       OpenCL C
    .language_version:
      - 2
      - 0
    .max_flat_workgroup_size: 256
    .name:           _ZN9rocsparseL26coomvn_aos_segmented_loopsILj256EiddddEEvlT0_NS_24const_host_device_scalarIT4_EEPKS1_PKT1_PKT2_PT3_PS1_PS3_21rocsparse_index_base_b
    .private_segment_fixed_size: 0
    .sgpr_count:     32
    .sgpr_spill_count: 0
    .symbol:         _ZN9rocsparseL26coomvn_aos_segmented_loopsILj256EiddddEEvlT0_NS_24const_host_device_scalarIT4_EEPKS1_PKT1_PKT2_PT3_PS1_PS3_21rocsparse_index_base_b.kd
    .uniform_work_group_size: 1
    .uses_dynamic_stack: false
    .vgpr_count:     36
    .vgpr_spill_count: 0
    .wavefront_size: 32
  - .args:
      - .offset:         0
        .size:           4
        .value_kind:     by_value
      - .offset:         8
        .size:           8
        .value_kind:     by_value
      - .actual_access:  read_only
        .address_space:  global
        .offset:         16
        .size:           8
        .value_kind:     global_buffer
      - .actual_access:  read_only
        .address_space:  global
        .offset:         24
        .size:           8
        .value_kind:     global_buffer
      - .address_space:  global
        .offset:         32
        .size:           8
        .value_kind:     global_buffer
      - .offset:         40
        .size:           1
        .value_kind:     by_value
    .group_segment_fixed_size: 3072
    .kernarg_segment_align: 8
    .kernarg_segment_size: 44
    .language:       OpenCL C
    .language_version:
      - 2
      - 0
    .max_flat_workgroup_size: 256
    .name:           _ZN9rocsparseL29coomvn_segmented_loops_reduceILj256EiddEEvT0_NS_24const_host_device_scalarIT2_EEPKS1_PKS3_PT1_b
    .private_segment_fixed_size: 0
    .sgpr_count:     21
    .sgpr_spill_count: 0
    .symbol:         _ZN9rocsparseL29coomvn_segmented_loops_reduceILj256EiddEEvT0_NS_24const_host_device_scalarIT2_EEPKS1_PKS3_PT1_b.kd
    .uniform_work_group_size: 1
    .uses_dynamic_stack: false
    .vgpr_count:     26
    .vgpr_spill_count: 0
    .wavefront_size: 32
  - .args:
      - .offset:         0
        .size:           8
        .value_kind:     by_value
      - .offset:         8
        .size:           8
        .value_kind:     by_value
      - .actual_access:  read_only
        .address_space:  global
        .offset:         16
        .size:           8
        .value_kind:     global_buffer
      - .actual_access:  read_only
        .address_space:  global
        .offset:         24
        .size:           8
        .value_kind:     global_buffer
      - .actual_access:  read_only
        .address_space:  global
        .offset:         32
        .size:           8
        .value_kind:     global_buffer
      - .address_space:  global
        .offset:         40
        .size:           8
        .value_kind:     global_buffer
      - .offset:         48
        .size:           4
        .value_kind:     by_value
      - .offset:         52
        .size:           1
        .value_kind:     by_value
    .group_segment_fixed_size: 4096
    .kernarg_segment_align: 8
    .kernarg_segment_size: 56
    .language:       OpenCL C
    .language_version:
      - 2
      - 0
    .max_flat_workgroup_size: 256
    .name:           _ZN9rocsparseL23coomvn_aos_atomic_loopsILj256ELj1ElddddEEvlNS_24const_host_device_scalarIT5_EEPKT1_PKT2_PKT3_PT4_21rocsparse_index_base_b
    .private_segment_fixed_size: 0
    .sgpr_count:     14
    .sgpr_spill_count: 0
    .symbol:         _ZN9rocsparseL23coomvn_aos_atomic_loopsILj256ELj1ElddddEEvlNS_24const_host_device_scalarIT5_EEPKT1_PKT2_PKT3_PT4_21rocsparse_index_base_b.kd
    .uniform_work_group_size: 1
    .uses_dynamic_stack: false
    .vgpr_count:     14
    .vgpr_spill_count: 0
    .wavefront_size: 32
  - .args:
      - .offset:         0
        .size:           4
        .value_kind:     by_value
      - .offset:         8
        .size:           8
        .value_kind:     by_value
      - .offset:         16
        .size:           8
        .value_kind:     by_value
      - .actual_access:  read_only
        .address_space:  global
        .offset:         24
        .size:           8
        .value_kind:     global_buffer
      - .actual_access:  read_only
        .address_space:  global
        .offset:         32
        .size:           8
        .value_kind:     global_buffer
      - .actual_access:  read_only
        .address_space:  global
        .offset:         40
        .size:           8
        .value_kind:     global_buffer
      - .address_space:  global
        .offset:         48
        .size:           8
        .value_kind:     global_buffer
      - .offset:         56
        .size:           4
        .value_kind:     by_value
      - .offset:         60
        .size:           1
        .value_kind:     by_value
      - .offset:         64
        .size:           4
        .value_kind:     hidden_block_count_x
      - .offset:         68
        .size:           4
        .value_kind:     hidden_block_count_y
      - .offset:         72
        .size:           4
        .value_kind:     hidden_block_count_z
      - .offset:         76
        .size:           2
        .value_kind:     hidden_group_size_x
      - .offset:         78
        .size:           2
        .value_kind:     hidden_group_size_y
      - .offset:         80
        .size:           2
        .value_kind:     hidden_group_size_z
      - .offset:         82
        .size:           2
        .value_kind:     hidden_remainder_x
      - .offset:         84
        .size:           2
        .value_kind:     hidden_remainder_y
      - .offset:         86
        .size:           2
        .value_kind:     hidden_remainder_z
      - .offset:         104
        .size:           8
        .value_kind:     hidden_global_offset_x
      - .offset:         112
        .size:           8
        .value_kind:     hidden_global_offset_y
      - .offset:         120
        .size:           8
        .value_kind:     hidden_global_offset_z
      - .offset:         128
        .size:           2
        .value_kind:     hidden_grid_dims
    .group_segment_fixed_size: 0
    .kernarg_segment_align: 8
    .kernarg_segment_size: 320
    .language:       OpenCL C
    .language_version:
      - 2
      - 0
    .max_flat_workgroup_size: 1024
    .name:           _ZN9rocsparseL17coomvt_aos_kernelILj1024ElddddEEv20rocsparse_operation_lNS_24const_host_device_scalarIT4_EEPKT0_PKT1_PKT2_PT3_21rocsparse_index_base_b
    .private_segment_fixed_size: 0
    .sgpr_count:     14
    .sgpr_spill_count: 0
    .symbol:         _ZN9rocsparseL17coomvt_aos_kernelILj1024ElddddEEv20rocsparse_operation_lNS_24const_host_device_scalarIT4_EEPKT0_PKT1_PKT2_PT3_21rocsparse_index_base_b.kd
    .uniform_work_group_size: 1
    .uses_dynamic_stack: false
    .vgpr_count:     8
    .vgpr_spill_count: 0
    .wavefront_size: 32
  - .args:
      - .offset:         0
        .size:           8
        .value_kind:     by_value
      - .offset:         8
        .size:           8
        .value_kind:     by_value
      - .offset:         16
        .size:           8
        .value_kind:     by_value
      - .actual_access:  read_only
        .address_space:  global
        .offset:         24
        .size:           8
        .value_kind:     global_buffer
      - .actual_access:  read_only
        .address_space:  global
        .offset:         32
        .size:           8
        .value_kind:     global_buffer
      - .actual_access:  read_only
        .address_space:  global
        .offset:         40
        .size:           8
        .value_kind:     global_buffer
      - .address_space:  global
        .offset:         48
        .size:           8
        .value_kind:     global_buffer
      - .actual_access:  write_only
        .address_space:  global
        .offset:         56
        .size:           8
        .value_kind:     global_buffer
      - .actual_access:  write_only
        .address_space:  global
        .offset:         64
        .size:           8
        .value_kind:     global_buffer
      - .offset:         72
        .size:           4
        .value_kind:     by_value
      - .offset:         76
        .size:           1
        .value_kind:     by_value
    .group_segment_fixed_size: 4096
    .kernarg_segment_align: 8
    .kernarg_segment_size: 80
    .language:       OpenCL C
    .language_version:
      - 2
      - 0
    .max_flat_workgroup_size: 256
    .name:           _ZN9rocsparseL26coomvn_aos_segmented_loopsILj256ElddddEEvlT0_NS_24const_host_device_scalarIT4_EEPKS1_PKT1_PKT2_PT3_PS1_PS3_21rocsparse_index_base_b
    .private_segment_fixed_size: 0
    .sgpr_count:     38
    .sgpr_spill_count: 0
    .symbol:         _ZN9rocsparseL26coomvn_aos_segmented_loopsILj256ElddddEEvlT0_NS_24const_host_device_scalarIT4_EEPKS1_PKT1_PKT2_PT3_PS1_PS3_21rocsparse_index_base_b.kd
    .uniform_work_group_size: 1
    .uses_dynamic_stack: false
    .vgpr_count:     38
    .vgpr_spill_count: 0
    .wavefront_size: 32
  - .args:
      - .offset:         0
        .size:           8
        .value_kind:     by_value
      - .offset:         8
        .size:           8
        .value_kind:     by_value
      - .actual_access:  read_only
        .address_space:  global
        .offset:         16
        .size:           8
        .value_kind:     global_buffer
      - .actual_access:  read_only
        .address_space:  global
        .offset:         24
        .size:           8
        .value_kind:     global_buffer
      - .address_space:  global
        .offset:         32
        .size:           8
        .value_kind:     global_buffer
      - .offset:         40
        .size:           1
        .value_kind:     by_value
    .group_segment_fixed_size: 4096
    .kernarg_segment_align: 8
    .kernarg_segment_size: 44
    .language:       OpenCL C
    .language_version:
      - 2
      - 0
    .max_flat_workgroup_size: 256
    .name:           _ZN9rocsparseL29coomvn_segmented_loops_reduceILj256ElddEEvT0_NS_24const_host_device_scalarIT2_EEPKS1_PKS3_PT1_b
    .private_segment_fixed_size: 0
    .sgpr_count:     20
    .sgpr_spill_count: 0
    .symbol:         _ZN9rocsparseL29coomvn_segmented_loops_reduceILj256ElddEEvT0_NS_24const_host_device_scalarIT2_EEPKS1_PKS3_PT1_b.kd
    .uniform_work_group_size: 1
    .uses_dynamic_stack: false
    .vgpr_count:     30
    .vgpr_spill_count: 0
    .wavefront_size: 32
  - .args:
      - .offset:         0
        .size:           8
        .value_kind:     by_value
      - .offset:         8
        .size:           8
        .value_kind:     by_value
      - .actual_access:  read_only
        .address_space:  global
        .offset:         16
        .size:           8
        .value_kind:     global_buffer
      - .actual_access:  read_only
        .address_space:  global
        .offset:         24
        .size:           8
        .value_kind:     global_buffer
      - .actual_access:  read_only
        .address_space:  global
        .offset:         32
        .size:           8
        .value_kind:     global_buffer
      - .address_space:  global
        .offset:         40
        .size:           8
        .value_kind:     global_buffer
      - .offset:         48
        .size:           4
        .value_kind:     by_value
      - .offset:         52
        .size:           1
        .value_kind:     by_value
    .group_segment_fixed_size: 3072
    .kernarg_segment_align: 8
    .kernarg_segment_size: 56
    .language:       OpenCL C
    .language_version:
      - 2
      - 0
    .max_flat_workgroup_size: 256
    .name:           _ZN9rocsparseL23coomvn_aos_atomic_loopsILj256ELj1Ei21rocsparse_complex_numIfES2_S2_S2_EEvlNS_24const_host_device_scalarIT5_EEPKT1_PKT2_PKT3_PT4_21rocsparse_index_base_b
    .private_segment_fixed_size: 0
    .sgpr_count:     14
    .sgpr_spill_count: 0
    .symbol:         _ZN9rocsparseL23coomvn_aos_atomic_loopsILj256ELj1Ei21rocsparse_complex_numIfES2_S2_S2_EEvlNS_24const_host_device_scalarIT5_EEPKT1_PKT2_PKT3_PT4_21rocsparse_index_base_b.kd
    .uniform_work_group_size: 1
    .uses_dynamic_stack: false
    .vgpr_count:     12
    .vgpr_spill_count: 0
    .wavefront_size: 32
  - .args:
      - .offset:         0
        .size:           4
        .value_kind:     by_value
      - .offset:         8
        .size:           8
        .value_kind:     by_value
      - .offset:         16
        .size:           8
        .value_kind:     by_value
      - .actual_access:  read_only
        .address_space:  global
        .offset:         24
        .size:           8
        .value_kind:     global_buffer
      - .actual_access:  read_only
        .address_space:  global
        .offset:         32
        .size:           8
        .value_kind:     global_buffer
      - .actual_access:  read_only
        .address_space:  global
        .offset:         40
        .size:           8
        .value_kind:     global_buffer
      - .address_space:  global
        .offset:         48
        .size:           8
        .value_kind:     global_buffer
      - .offset:         56
        .size:           4
        .value_kind:     by_value
      - .offset:         60
        .size:           1
        .value_kind:     by_value
      - .offset:         64
        .size:           4
        .value_kind:     hidden_block_count_x
      - .offset:         68
        .size:           4
        .value_kind:     hidden_block_count_y
      - .offset:         72
        .size:           4
        .value_kind:     hidden_block_count_z
      - .offset:         76
        .size:           2
        .value_kind:     hidden_group_size_x
      - .offset:         78
        .size:           2
        .value_kind:     hidden_group_size_y
      - .offset:         80
        .size:           2
        .value_kind:     hidden_group_size_z
      - .offset:         82
        .size:           2
        .value_kind:     hidden_remainder_x
      - .offset:         84
        .size:           2
        .value_kind:     hidden_remainder_y
      - .offset:         86
        .size:           2
        .value_kind:     hidden_remainder_z
      - .offset:         104
        .size:           8
        .value_kind:     hidden_global_offset_x
      - .offset:         112
        .size:           8
        .value_kind:     hidden_global_offset_y
      - .offset:         120
        .size:           8
        .value_kind:     hidden_global_offset_z
      - .offset:         128
        .size:           2
        .value_kind:     hidden_grid_dims
    .group_segment_fixed_size: 0
    .kernarg_segment_align: 8
    .kernarg_segment_size: 320
    .language:       OpenCL C
    .language_version:
      - 2
      - 0
    .max_flat_workgroup_size: 1024
    .name:           _ZN9rocsparseL17coomvt_aos_kernelILj1024Ei21rocsparse_complex_numIfES2_S2_S2_EEv20rocsparse_operation_lNS_24const_host_device_scalarIT4_EEPKT0_PKT1_PKT2_PT3_21rocsparse_index_base_b
    .private_segment_fixed_size: 0
    .sgpr_count:     22
    .sgpr_spill_count: 0
    .symbol:         _ZN9rocsparseL17coomvt_aos_kernelILj1024Ei21rocsparse_complex_numIfES2_S2_S2_EEv20rocsparse_operation_lNS_24const_host_device_scalarIT4_EEPKT0_PKT1_PKT2_PT3_21rocsparse_index_base_b.kd
    .uniform_work_group_size: 1
    .uses_dynamic_stack: false
    .vgpr_count:     10
    .vgpr_spill_count: 0
    .wavefront_size: 32
  - .args:
      - .offset:         0
        .size:           8
        .value_kind:     by_value
      - .offset:         8
        .size:           4
        .value_kind:     by_value
      - .offset:         16
        .size:           8
        .value_kind:     by_value
      - .actual_access:  read_only
        .address_space:  global
        .offset:         24
        .size:           8
        .value_kind:     global_buffer
      - .actual_access:  read_only
        .address_space:  global
        .offset:         32
        .size:           8
        .value_kind:     global_buffer
      - .actual_access:  read_only
        .address_space:  global
        .offset:         40
        .size:           8
        .value_kind:     global_buffer
      - .address_space:  global
        .offset:         48
        .size:           8
        .value_kind:     global_buffer
      - .actual_access:  write_only
        .address_space:  global
        .offset:         56
        .size:           8
        .value_kind:     global_buffer
      - .actual_access:  write_only
        .address_space:  global
        .offset:         64
        .size:           8
        .value_kind:     global_buffer
      - .offset:         72
        .size:           4
        .value_kind:     by_value
      - .offset:         76
        .size:           1
        .value_kind:     by_value
    .group_segment_fixed_size: 3072
    .kernarg_segment_align: 8
    .kernarg_segment_size: 80
    .language:       OpenCL C
    .language_version:
      - 2
      - 0
    .max_flat_workgroup_size: 256
    .name:           _ZN9rocsparseL26coomvn_aos_segmented_loopsILj256Ei21rocsparse_complex_numIfES2_S2_S2_EEvlT0_NS_24const_host_device_scalarIT4_EEPKS3_PKT1_PKT2_PT3_PS3_PS5_21rocsparse_index_base_b
    .private_segment_fixed_size: 0
    .sgpr_count:     32
    .sgpr_spill_count: 0
    .symbol:         _ZN9rocsparseL26coomvn_aos_segmented_loopsILj256Ei21rocsparse_complex_numIfES2_S2_S2_EEvlT0_NS_24const_host_device_scalarIT4_EEPKS3_PKT1_PKT2_PT3_PS3_PS5_21rocsparse_index_base_b.kd
    .uniform_work_group_size: 1
    .uses_dynamic_stack: false
    .vgpr_count:     40
    .vgpr_spill_count: 0
    .wavefront_size: 32
  - .args:
      - .offset:         0
        .size:           4
        .value_kind:     by_value
      - .offset:         8
        .size:           8
        .value_kind:     by_value
      - .actual_access:  read_only
        .address_space:  global
        .offset:         16
        .size:           8
        .value_kind:     global_buffer
      - .actual_access:  read_only
        .address_space:  global
        .offset:         24
        .size:           8
        .value_kind:     global_buffer
      - .address_space:  global
        .offset:         32
        .size:           8
        .value_kind:     global_buffer
      - .offset:         40
        .size:           1
        .value_kind:     by_value
    .group_segment_fixed_size: 3072
    .kernarg_segment_align: 8
    .kernarg_segment_size: 44
    .language:       OpenCL C
    .language_version:
      - 2
      - 0
    .max_flat_workgroup_size: 256
    .name:           _ZN9rocsparseL29coomvn_segmented_loops_reduceILj256Ei21rocsparse_complex_numIfES2_EEvT0_NS_24const_host_device_scalarIT2_EEPKS3_PKS5_PT1_b
    .private_segment_fixed_size: 0
    .sgpr_count:     21
    .sgpr_spill_count: 0
    .symbol:         _ZN9rocsparseL29coomvn_segmented_loops_reduceILj256Ei21rocsparse_complex_numIfES2_EEvT0_NS_24const_host_device_scalarIT2_EEPKS3_PKS5_PT1_b.kd
    .uniform_work_group_size: 1
    .uses_dynamic_stack: false
    .vgpr_count:     26
    .vgpr_spill_count: 0
    .wavefront_size: 32
  - .args:
      - .offset:         0
        .size:           8
        .value_kind:     by_value
      - .offset:         8
        .size:           8
        .value_kind:     by_value
      - .actual_access:  read_only
        .address_space:  global
        .offset:         16
        .size:           8
        .value_kind:     global_buffer
      - .actual_access:  read_only
        .address_space:  global
        .offset:         24
        .size:           8
        .value_kind:     global_buffer
      - .actual_access:  read_only
        .address_space:  global
        .offset:         32
        .size:           8
        .value_kind:     global_buffer
      - .address_space:  global
        .offset:         40
        .size:           8
        .value_kind:     global_buffer
      - .offset:         48
        .size:           4
        .value_kind:     by_value
      - .offset:         52
        .size:           1
        .value_kind:     by_value
    .group_segment_fixed_size: 4096
    .kernarg_segment_align: 8
    .kernarg_segment_size: 56
    .language:       OpenCL C
    .language_version:
      - 2
      - 0
    .max_flat_workgroup_size: 256
    .name:           _ZN9rocsparseL23coomvn_aos_atomic_loopsILj256ELj1El21rocsparse_complex_numIfES2_S2_S2_EEvlNS_24const_host_device_scalarIT5_EEPKT1_PKT2_PKT3_PT4_21rocsparse_index_base_b
    .private_segment_fixed_size: 0
    .sgpr_count:     14
    .sgpr_spill_count: 0
    .symbol:         _ZN9rocsparseL23coomvn_aos_atomic_loopsILj256ELj1El21rocsparse_complex_numIfES2_S2_S2_EEvlNS_24const_host_device_scalarIT5_EEPKT1_PKT2_PKT3_PT4_21rocsparse_index_base_b.kd
    .uniform_work_group_size: 1
    .uses_dynamic_stack: false
    .vgpr_count:     14
    .vgpr_spill_count: 0
    .wavefront_size: 32
  - .args:
      - .offset:         0
        .size:           4
        .value_kind:     by_value
      - .offset:         8
        .size:           8
        .value_kind:     by_value
      - .offset:         16
        .size:           8
        .value_kind:     by_value
      - .actual_access:  read_only
        .address_space:  global
        .offset:         24
        .size:           8
        .value_kind:     global_buffer
      - .actual_access:  read_only
        .address_space:  global
        .offset:         32
        .size:           8
        .value_kind:     global_buffer
      - .actual_access:  read_only
        .address_space:  global
        .offset:         40
        .size:           8
        .value_kind:     global_buffer
      - .address_space:  global
        .offset:         48
        .size:           8
        .value_kind:     global_buffer
      - .offset:         56
        .size:           4
        .value_kind:     by_value
      - .offset:         60
        .size:           1
        .value_kind:     by_value
      - .offset:         64
        .size:           4
        .value_kind:     hidden_block_count_x
      - .offset:         68
        .size:           4
        .value_kind:     hidden_block_count_y
      - .offset:         72
        .size:           4
        .value_kind:     hidden_block_count_z
      - .offset:         76
        .size:           2
        .value_kind:     hidden_group_size_x
      - .offset:         78
        .size:           2
        .value_kind:     hidden_group_size_y
      - .offset:         80
        .size:           2
        .value_kind:     hidden_group_size_z
      - .offset:         82
        .size:           2
        .value_kind:     hidden_remainder_x
      - .offset:         84
        .size:           2
        .value_kind:     hidden_remainder_y
      - .offset:         86
        .size:           2
        .value_kind:     hidden_remainder_z
      - .offset:         104
        .size:           8
        .value_kind:     hidden_global_offset_x
      - .offset:         112
        .size:           8
        .value_kind:     hidden_global_offset_y
      - .offset:         120
        .size:           8
        .value_kind:     hidden_global_offset_z
      - .offset:         128
        .size:           2
        .value_kind:     hidden_grid_dims
    .group_segment_fixed_size: 0
    .kernarg_segment_align: 8
    .kernarg_segment_size: 320
    .language:       OpenCL C
    .language_version:
      - 2
      - 0
    .max_flat_workgroup_size: 1024
    .name:           _ZN9rocsparseL17coomvt_aos_kernelILj1024El21rocsparse_complex_numIfES2_S2_S2_EEv20rocsparse_operation_lNS_24const_host_device_scalarIT4_EEPKT0_PKT1_PKT2_PT3_21rocsparse_index_base_b
    .private_segment_fixed_size: 0
    .sgpr_count:     22
    .sgpr_spill_count: 0
    .symbol:         _ZN9rocsparseL17coomvt_aos_kernelILj1024El21rocsparse_complex_numIfES2_S2_S2_EEv20rocsparse_operation_lNS_24const_host_device_scalarIT4_EEPKT0_PKT1_PKT2_PT3_21rocsparse_index_base_b.kd
    .uniform_work_group_size: 1
    .uses_dynamic_stack: false
    .vgpr_count:     10
    .vgpr_spill_count: 0
    .wavefront_size: 32
  - .args:
      - .offset:         0
        .size:           8
        .value_kind:     by_value
      - .offset:         8
        .size:           8
        .value_kind:     by_value
      - .offset:         16
        .size:           8
        .value_kind:     by_value
      - .actual_access:  read_only
        .address_space:  global
        .offset:         24
        .size:           8
        .value_kind:     global_buffer
      - .actual_access:  read_only
        .address_space:  global
        .offset:         32
        .size:           8
        .value_kind:     global_buffer
      - .actual_access:  read_only
        .address_space:  global
        .offset:         40
        .size:           8
        .value_kind:     global_buffer
      - .address_space:  global
        .offset:         48
        .size:           8
        .value_kind:     global_buffer
      - .actual_access:  write_only
        .address_space:  global
        .offset:         56
        .size:           8
        .value_kind:     global_buffer
      - .actual_access:  write_only
        .address_space:  global
        .offset:         64
        .size:           8
        .value_kind:     global_buffer
      - .offset:         72
        .size:           4
        .value_kind:     by_value
      - .offset:         76
        .size:           1
        .value_kind:     by_value
    .group_segment_fixed_size: 4096
    .kernarg_segment_align: 8
    .kernarg_segment_size: 80
    .language:       OpenCL C
    .language_version:
      - 2
      - 0
    .max_flat_workgroup_size: 256
    .name:           _ZN9rocsparseL26coomvn_aos_segmented_loopsILj256El21rocsparse_complex_numIfES2_S2_S2_EEvlT0_NS_24const_host_device_scalarIT4_EEPKS3_PKT1_PKT2_PT3_PS3_PS5_21rocsparse_index_base_b
    .private_segment_fixed_size: 0
    .sgpr_count:     38
    .sgpr_spill_count: 0
    .symbol:         _ZN9rocsparseL26coomvn_aos_segmented_loopsILj256El21rocsparse_complex_numIfES2_S2_S2_EEvlT0_NS_24const_host_device_scalarIT4_EEPKS3_PKT1_PKT2_PT3_PS3_PS5_21rocsparse_index_base_b.kd
    .uniform_work_group_size: 1
    .uses_dynamic_stack: false
    .vgpr_count:     40
    .vgpr_spill_count: 0
    .wavefront_size: 32
  - .args:
      - .offset:         0
        .size:           8
        .value_kind:     by_value
      - .offset:         8
        .size:           8
        .value_kind:     by_value
      - .actual_access:  read_only
        .address_space:  global
        .offset:         16
        .size:           8
        .value_kind:     global_buffer
      - .actual_access:  read_only
        .address_space:  global
        .offset:         24
        .size:           8
        .value_kind:     global_buffer
      - .address_space:  global
        .offset:         32
        .size:           8
        .value_kind:     global_buffer
      - .offset:         40
        .size:           1
        .value_kind:     by_value
    .group_segment_fixed_size: 4096
    .kernarg_segment_align: 8
    .kernarg_segment_size: 44
    .language:       OpenCL C
    .language_version:
      - 2
      - 0
    .max_flat_workgroup_size: 256
    .name:           _ZN9rocsparseL29coomvn_segmented_loops_reduceILj256El21rocsparse_complex_numIfES2_EEvT0_NS_24const_host_device_scalarIT2_EEPKS3_PKS5_PT1_b
    .private_segment_fixed_size: 0
    .sgpr_count:     20
    .sgpr_spill_count: 0
    .symbol:         _ZN9rocsparseL29coomvn_segmented_loops_reduceILj256El21rocsparse_complex_numIfES2_EEvT0_NS_24const_host_device_scalarIT2_EEPKS3_PKS5_PT1_b.kd
    .uniform_work_group_size: 1
    .uses_dynamic_stack: false
    .vgpr_count:     32
    .vgpr_spill_count: 0
    .wavefront_size: 32
  - .args:
      - .offset:         0
        .size:           8
        .value_kind:     by_value
      - .offset:         8
        .size:           16
        .value_kind:     by_value
      - .actual_access:  read_only
        .address_space:  global
        .offset:         24
        .size:           8
        .value_kind:     global_buffer
      - .actual_access:  read_only
        .address_space:  global
        .offset:         32
        .size:           8
        .value_kind:     global_buffer
      - .actual_access:  read_only
        .address_space:  global
        .offset:         40
        .size:           8
        .value_kind:     global_buffer
      - .address_space:  global
        .offset:         48
        .size:           8
        .value_kind:     global_buffer
      - .offset:         56
        .size:           4
        .value_kind:     by_value
      - .offset:         60
        .size:           1
        .value_kind:     by_value
    .group_segment_fixed_size: 5120
    .kernarg_segment_align: 8
    .kernarg_segment_size: 64
    .language:       OpenCL C
    .language_version:
      - 2
      - 0
    .max_flat_workgroup_size: 256
    .name:           _ZN9rocsparseL23coomvn_aos_atomic_loopsILj256ELj1Ei21rocsparse_complex_numIdES2_S2_S2_EEvlNS_24const_host_device_scalarIT5_EEPKT1_PKT2_PKT3_PT4_21rocsparse_index_base_b
    .private_segment_fixed_size: 0
    .sgpr_count:     14
    .sgpr_spill_count: 0
    .symbol:         _ZN9rocsparseL23coomvn_aos_atomic_loopsILj256ELj1Ei21rocsparse_complex_numIdES2_S2_S2_EEvlNS_24const_host_device_scalarIT5_EEPKT1_PKT2_PKT3_PT4_21rocsparse_index_base_b.kd
    .uniform_work_group_size: 1
    .uses_dynamic_stack: false
    .vgpr_count:     20
    .vgpr_spill_count: 0
    .wavefront_size: 32
  - .args:
      - .offset:         0
        .size:           4
        .value_kind:     by_value
      - .offset:         8
        .size:           8
        .value_kind:     by_value
      - .offset:         16
        .size:           16
        .value_kind:     by_value
      - .actual_access:  read_only
        .address_space:  global
        .offset:         32
        .size:           8
        .value_kind:     global_buffer
      - .actual_access:  read_only
        .address_space:  global
        .offset:         40
        .size:           8
        .value_kind:     global_buffer
      - .actual_access:  read_only
        .address_space:  global
        .offset:         48
        .size:           8
        .value_kind:     global_buffer
      - .address_space:  global
        .offset:         56
        .size:           8
        .value_kind:     global_buffer
      - .offset:         64
        .size:           4
        .value_kind:     by_value
      - .offset:         68
        .size:           1
        .value_kind:     by_value
      - .offset:         72
        .size:           4
        .value_kind:     hidden_block_count_x
      - .offset:         76
        .size:           4
        .value_kind:     hidden_block_count_y
      - .offset:         80
        .size:           4
        .value_kind:     hidden_block_count_z
      - .offset:         84
        .size:           2
        .value_kind:     hidden_group_size_x
      - .offset:         86
        .size:           2
        .value_kind:     hidden_group_size_y
      - .offset:         88
        .size:           2
        .value_kind:     hidden_group_size_z
      - .offset:         90
        .size:           2
        .value_kind:     hidden_remainder_x
      - .offset:         92
        .size:           2
        .value_kind:     hidden_remainder_y
      - .offset:         94
        .size:           2
        .value_kind:     hidden_remainder_z
      - .offset:         112
        .size:           8
        .value_kind:     hidden_global_offset_x
      - .offset:         120
        .size:           8
        .value_kind:     hidden_global_offset_y
      - .offset:         128
        .size:           8
        .value_kind:     hidden_global_offset_z
      - .offset:         136
        .size:           2
        .value_kind:     hidden_grid_dims
    .group_segment_fixed_size: 0
    .kernarg_segment_align: 8
    .kernarg_segment_size: 328
    .language:       OpenCL C
    .language_version:
      - 2
      - 0
    .max_flat_workgroup_size: 1024
    .name:           _ZN9rocsparseL17coomvt_aos_kernelILj1024Ei21rocsparse_complex_numIdES2_S2_S2_EEv20rocsparse_operation_lNS_24const_host_device_scalarIT4_EEPKT0_PKT1_PKT2_PT3_21rocsparse_index_base_b
    .private_segment_fixed_size: 0
    .sgpr_count:     16
    .sgpr_spill_count: 0
    .symbol:         _ZN9rocsparseL17coomvt_aos_kernelILj1024Ei21rocsparse_complex_numIdES2_S2_S2_EEv20rocsparse_operation_lNS_24const_host_device_scalarIT4_EEPKT0_PKT1_PKT2_PT3_21rocsparse_index_base_b.kd
    .uniform_work_group_size: 1
    .uses_dynamic_stack: false
    .vgpr_count:     16
    .vgpr_spill_count: 0
    .wavefront_size: 32
  - .args:
      - .offset:         0
        .size:           8
        .value_kind:     by_value
      - .offset:         8
        .size:           4
        .value_kind:     by_value
      - .offset:         16
        .size:           16
        .value_kind:     by_value
      - .actual_access:  read_only
        .address_space:  global
        .offset:         32
        .size:           8
        .value_kind:     global_buffer
      - .actual_access:  read_only
        .address_space:  global
        .offset:         40
        .size:           8
        .value_kind:     global_buffer
      - .actual_access:  read_only
        .address_space:  global
        .offset:         48
        .size:           8
        .value_kind:     global_buffer
      - .address_space:  global
        .offset:         56
        .size:           8
        .value_kind:     global_buffer
      - .actual_access:  write_only
        .address_space:  global
        .offset:         64
        .size:           8
        .value_kind:     global_buffer
      - .actual_access:  write_only
        .address_space:  global
        .offset:         72
        .size:           8
        .value_kind:     global_buffer
      - .offset:         80
        .size:           4
        .value_kind:     by_value
      - .offset:         84
        .size:           1
        .value_kind:     by_value
    .group_segment_fixed_size: 5120
    .kernarg_segment_align: 8
    .kernarg_segment_size: 88
    .language:       OpenCL C
    .language_version:
      - 2
      - 0
    .max_flat_workgroup_size: 256
    .name:           _ZN9rocsparseL26coomvn_aos_segmented_loopsILj256Ei21rocsparse_complex_numIdES2_S2_S2_EEvlT0_NS_24const_host_device_scalarIT4_EEPKS3_PKT1_PKT2_PT3_PS3_PS5_21rocsparse_index_base_b
    .private_segment_fixed_size: 0
    .sgpr_count:     28
    .sgpr_spill_count: 0
    .symbol:         _ZN9rocsparseL26coomvn_aos_segmented_loopsILj256Ei21rocsparse_complex_numIdES2_S2_S2_EEvlT0_NS_24const_host_device_scalarIT4_EEPKS3_PKT1_PKT2_PT3_PS3_PS5_21rocsparse_index_base_b.kd
    .uniform_work_group_size: 1
    .uses_dynamic_stack: false
    .vgpr_count:     46
    .vgpr_spill_count: 0
    .wavefront_size: 32
  - .args:
      - .offset:         0
        .size:           4
        .value_kind:     by_value
      - .offset:         8
        .size:           16
        .value_kind:     by_value
      - .actual_access:  read_only
        .address_space:  global
        .offset:         24
        .size:           8
        .value_kind:     global_buffer
      - .actual_access:  read_only
        .address_space:  global
        .offset:         32
        .size:           8
        .value_kind:     global_buffer
      - .address_space:  global
        .offset:         40
        .size:           8
        .value_kind:     global_buffer
      - .offset:         48
        .size:           1
        .value_kind:     by_value
    .group_segment_fixed_size: 5120
    .kernarg_segment_align: 8
    .kernarg_segment_size: 52
    .language:       OpenCL C
    .language_version:
      - 2
      - 0
    .max_flat_workgroup_size: 256
    .name:           _ZN9rocsparseL29coomvn_segmented_loops_reduceILj256Ei21rocsparse_complex_numIdES2_EEvT0_NS_24const_host_device_scalarIT2_EEPKS3_PKS5_PT1_b
    .private_segment_fixed_size: 0
    .sgpr_count:     21
    .sgpr_spill_count: 0
    .symbol:         _ZN9rocsparseL29coomvn_segmented_loops_reduceILj256Ei21rocsparse_complex_numIdES2_EEvT0_NS_24const_host_device_scalarIT2_EEPKS3_PKS5_PT1_b.kd
    .uniform_work_group_size: 1
    .uses_dynamic_stack: false
    .vgpr_count:     32
    .vgpr_spill_count: 0
    .wavefront_size: 32
  - .args:
      - .offset:         0
        .size:           8
        .value_kind:     by_value
      - .offset:         8
        .size:           16
        .value_kind:     by_value
      - .actual_access:  read_only
        .address_space:  global
        .offset:         24
        .size:           8
        .value_kind:     global_buffer
      - .actual_access:  read_only
        .address_space:  global
        .offset:         32
        .size:           8
        .value_kind:     global_buffer
      - .actual_access:  read_only
        .address_space:  global
        .offset:         40
        .size:           8
        .value_kind:     global_buffer
      - .address_space:  global
        .offset:         48
        .size:           8
        .value_kind:     global_buffer
      - .offset:         56
        .size:           4
        .value_kind:     by_value
      - .offset:         60
        .size:           1
        .value_kind:     by_value
    .group_segment_fixed_size: 6144
    .kernarg_segment_align: 8
    .kernarg_segment_size: 64
    .language:       OpenCL C
    .language_version:
      - 2
      - 0
    .max_flat_workgroup_size: 256
    .name:           _ZN9rocsparseL23coomvn_aos_atomic_loopsILj256ELj1El21rocsparse_complex_numIdES2_S2_S2_EEvlNS_24const_host_device_scalarIT5_EEPKT1_PKT2_PKT3_PT4_21rocsparse_index_base_b
    .private_segment_fixed_size: 0
    .sgpr_count:     14
    .sgpr_spill_count: 0
    .symbol:         _ZN9rocsparseL23coomvn_aos_atomic_loopsILj256ELj1El21rocsparse_complex_numIdES2_S2_S2_EEvlNS_24const_host_device_scalarIT5_EEPKT1_PKT2_PKT3_PT4_21rocsparse_index_base_b.kd
    .uniform_work_group_size: 1
    .uses_dynamic_stack: false
    .vgpr_count:     20
    .vgpr_spill_count: 0
    .wavefront_size: 32
  - .args:
      - .offset:         0
        .size:           4
        .value_kind:     by_value
      - .offset:         8
        .size:           8
        .value_kind:     by_value
      - .offset:         16
        .size:           16
        .value_kind:     by_value
      - .actual_access:  read_only
        .address_space:  global
        .offset:         32
        .size:           8
        .value_kind:     global_buffer
      - .actual_access:  read_only
        .address_space:  global
        .offset:         40
        .size:           8
        .value_kind:     global_buffer
      - .actual_access:  read_only
        .address_space:  global
        .offset:         48
        .size:           8
        .value_kind:     global_buffer
      - .address_space:  global
        .offset:         56
        .size:           8
        .value_kind:     global_buffer
      - .offset:         64
        .size:           4
        .value_kind:     by_value
      - .offset:         68
        .size:           1
        .value_kind:     by_value
      - .offset:         72
        .size:           4
        .value_kind:     hidden_block_count_x
      - .offset:         76
        .size:           4
        .value_kind:     hidden_block_count_y
      - .offset:         80
        .size:           4
        .value_kind:     hidden_block_count_z
      - .offset:         84
        .size:           2
        .value_kind:     hidden_group_size_x
      - .offset:         86
        .size:           2
        .value_kind:     hidden_group_size_y
      - .offset:         88
        .size:           2
        .value_kind:     hidden_group_size_z
      - .offset:         90
        .size:           2
        .value_kind:     hidden_remainder_x
      - .offset:         92
        .size:           2
        .value_kind:     hidden_remainder_y
      - .offset:         94
        .size:           2
        .value_kind:     hidden_remainder_z
      - .offset:         112
        .size:           8
        .value_kind:     hidden_global_offset_x
      - .offset:         120
        .size:           8
        .value_kind:     hidden_global_offset_y
      - .offset:         128
        .size:           8
        .value_kind:     hidden_global_offset_z
      - .offset:         136
        .size:           2
        .value_kind:     hidden_grid_dims
    .group_segment_fixed_size: 0
    .kernarg_segment_align: 8
    .kernarg_segment_size: 328
    .language:       OpenCL C
    .language_version:
      - 2
      - 0
    .max_flat_workgroup_size: 1024
    .name:           _ZN9rocsparseL17coomvt_aos_kernelILj1024El21rocsparse_complex_numIdES2_S2_S2_EEv20rocsparse_operation_lNS_24const_host_device_scalarIT4_EEPKT0_PKT1_PKT2_PT3_21rocsparse_index_base_b
    .private_segment_fixed_size: 0
    .sgpr_count:     16
    .sgpr_spill_count: 0
    .symbol:         _ZN9rocsparseL17coomvt_aos_kernelILj1024El21rocsparse_complex_numIdES2_S2_S2_EEv20rocsparse_operation_lNS_24const_host_device_scalarIT4_EEPKT0_PKT1_PKT2_PT3_21rocsparse_index_base_b.kd
    .uniform_work_group_size: 1
    .uses_dynamic_stack: false
    .vgpr_count:     18
    .vgpr_spill_count: 0
    .wavefront_size: 32
  - .args:
      - .offset:         0
        .size:           8
        .value_kind:     by_value
      - .offset:         8
        .size:           8
        .value_kind:     by_value
      - .offset:         16
        .size:           16
        .value_kind:     by_value
      - .actual_access:  read_only
        .address_space:  global
        .offset:         32
        .size:           8
        .value_kind:     global_buffer
      - .actual_access:  read_only
        .address_space:  global
        .offset:         40
        .size:           8
        .value_kind:     global_buffer
      - .actual_access:  read_only
        .address_space:  global
        .offset:         48
        .size:           8
        .value_kind:     global_buffer
      - .address_space:  global
        .offset:         56
        .size:           8
        .value_kind:     global_buffer
      - .actual_access:  write_only
        .address_space:  global
        .offset:         64
        .size:           8
        .value_kind:     global_buffer
      - .actual_access:  write_only
        .address_space:  global
        .offset:         72
        .size:           8
        .value_kind:     global_buffer
      - .offset:         80
        .size:           4
        .value_kind:     by_value
      - .offset:         84
        .size:           1
        .value_kind:     by_value
    .group_segment_fixed_size: 6144
    .kernarg_segment_align: 8
    .kernarg_segment_size: 88
    .language:       OpenCL C
    .language_version:
      - 2
      - 0
    .max_flat_workgroup_size: 256
    .name:           _ZN9rocsparseL26coomvn_aos_segmented_loopsILj256El21rocsparse_complex_numIdES2_S2_S2_EEvlT0_NS_24const_host_device_scalarIT4_EEPKS3_PKT1_PKT2_PT3_PS3_PS5_21rocsparse_index_base_b
    .private_segment_fixed_size: 0
    .sgpr_count:     34
    .sgpr_spill_count: 0
    .symbol:         _ZN9rocsparseL26coomvn_aos_segmented_loopsILj256El21rocsparse_complex_numIdES2_S2_S2_EEvlT0_NS_24const_host_device_scalarIT4_EEPKS3_PKT1_PKT2_PT3_PS3_PS5_21rocsparse_index_base_b.kd
    .uniform_work_group_size: 1
    .uses_dynamic_stack: false
    .vgpr_count:     44
    .vgpr_spill_count: 0
    .wavefront_size: 32
  - .args:
      - .offset:         0
        .size:           8
        .value_kind:     by_value
      - .offset:         8
        .size:           16
        .value_kind:     by_value
      - .actual_access:  read_only
        .address_space:  global
        .offset:         24
        .size:           8
        .value_kind:     global_buffer
      - .actual_access:  read_only
        .address_space:  global
        .offset:         32
        .size:           8
        .value_kind:     global_buffer
      - .address_space:  global
        .offset:         40
        .size:           8
        .value_kind:     global_buffer
      - .offset:         48
        .size:           1
        .value_kind:     by_value
    .group_segment_fixed_size: 6144
    .kernarg_segment_align: 8
    .kernarg_segment_size: 52
    .language:       OpenCL C
    .language_version:
      - 2
      - 0
    .max_flat_workgroup_size: 256
    .name:           _ZN9rocsparseL29coomvn_segmented_loops_reduceILj256El21rocsparse_complex_numIdES2_EEvT0_NS_24const_host_device_scalarIT2_EEPKS3_PKS5_PT1_b
    .private_segment_fixed_size: 0
    .sgpr_count:     20
    .sgpr_spill_count: 0
    .symbol:         _ZN9rocsparseL29coomvn_segmented_loops_reduceILj256El21rocsparse_complex_numIdES2_EEvT0_NS_24const_host_device_scalarIT2_EEPKS3_PKS5_PT1_b.kd
    .uniform_work_group_size: 1
    .uses_dynamic_stack: false
    .vgpr_count:     38
    .vgpr_spill_count: 0
    .wavefront_size: 32
  - .args:
      - .offset:         0
        .size:           8
        .value_kind:     by_value
      - .offset:         8
        .size:           8
        .value_kind:     by_value
      - .actual_access:  read_only
        .address_space:  global
        .offset:         16
        .size:           8
        .value_kind:     global_buffer
      - .actual_access:  read_only
        .address_space:  global
        .offset:         24
        .size:           8
        .value_kind:     global_buffer
      - .actual_access:  read_only
        .address_space:  global
        .offset:         32
        .size:           8
        .value_kind:     global_buffer
      - .address_space:  global
        .offset:         40
        .size:           8
        .value_kind:     global_buffer
      - .offset:         48
        .size:           4
        .value_kind:     by_value
      - .offset:         52
        .size:           1
        .value_kind:     by_value
    .group_segment_fixed_size: 2048
    .kernarg_segment_align: 8
    .kernarg_segment_size: 56
    .language:       OpenCL C
    .language_version:
      - 2
      - 0
    .max_flat_workgroup_size: 256
    .name:           _ZN9rocsparseL23coomvn_aos_atomic_loopsILj256ELj1EiaaiiEEvlNS_24const_host_device_scalarIT5_EEPKT1_PKT2_PKT3_PT4_21rocsparse_index_base_b
    .private_segment_fixed_size: 0
    .sgpr_count:     14
    .sgpr_spill_count: 0
    .symbol:         _ZN9rocsparseL23coomvn_aos_atomic_loopsILj256ELj1EiaaiiEEvlNS_24const_host_device_scalarIT5_EEPKT1_PKT2_PKT3_PT4_21rocsparse_index_base_b.kd
    .uniform_work_group_size: 1
    .uses_dynamic_stack: false
    .vgpr_count:     7
    .vgpr_spill_count: 0
    .wavefront_size: 32
  - .args:
      - .offset:         0
        .size:           4
        .value_kind:     by_value
      - .offset:         8
        .size:           8
        .value_kind:     by_value
      - .offset:         16
        .size:           8
        .value_kind:     by_value
      - .actual_access:  read_only
        .address_space:  global
        .offset:         24
        .size:           8
        .value_kind:     global_buffer
      - .actual_access:  read_only
        .address_space:  global
        .offset:         32
        .size:           8
        .value_kind:     global_buffer
      - .actual_access:  read_only
        .address_space:  global
        .offset:         40
        .size:           8
        .value_kind:     global_buffer
      - .address_space:  global
        .offset:         48
        .size:           8
        .value_kind:     global_buffer
      - .offset:         56
        .size:           4
        .value_kind:     by_value
      - .offset:         60
        .size:           1
        .value_kind:     by_value
      - .offset:         64
        .size:           4
        .value_kind:     hidden_block_count_x
      - .offset:         68
        .size:           4
        .value_kind:     hidden_block_count_y
      - .offset:         72
        .size:           4
        .value_kind:     hidden_block_count_z
      - .offset:         76
        .size:           2
        .value_kind:     hidden_group_size_x
      - .offset:         78
        .size:           2
        .value_kind:     hidden_group_size_y
      - .offset:         80
        .size:           2
        .value_kind:     hidden_group_size_z
      - .offset:         82
        .size:           2
        .value_kind:     hidden_remainder_x
      - .offset:         84
        .size:           2
        .value_kind:     hidden_remainder_y
      - .offset:         86
        .size:           2
        .value_kind:     hidden_remainder_z
      - .offset:         104
        .size:           8
        .value_kind:     hidden_global_offset_x
      - .offset:         112
        .size:           8
        .value_kind:     hidden_global_offset_y
      - .offset:         120
        .size:           8
        .value_kind:     hidden_global_offset_z
      - .offset:         128
        .size:           2
        .value_kind:     hidden_grid_dims
    .group_segment_fixed_size: 0
    .kernarg_segment_align: 8
    .kernarg_segment_size: 320
    .language:       OpenCL C
    .language_version:
      - 2
      - 0
    .max_flat_workgroup_size: 1024
    .name:           _ZN9rocsparseL17coomvt_aos_kernelILj1024EiaaiiEEv20rocsparse_operation_lNS_24const_host_device_scalarIT4_EEPKT0_PKT1_PKT2_PT3_21rocsparse_index_base_b
    .private_segment_fixed_size: 0
    .sgpr_count:     14
    .sgpr_spill_count: 0
    .symbol:         _ZN9rocsparseL17coomvt_aos_kernelILj1024EiaaiiEEv20rocsparse_operation_lNS_24const_host_device_scalarIT4_EEPKT0_PKT1_PKT2_PT3_21rocsparse_index_base_b.kd
    .uniform_work_group_size: 1
    .uses_dynamic_stack: false
    .vgpr_count:     4
    .vgpr_spill_count: 0
    .wavefront_size: 32
  - .args:
      - .offset:         0
        .size:           8
        .value_kind:     by_value
      - .offset:         8
        .size:           4
        .value_kind:     by_value
      - .offset:         16
        .size:           8
        .value_kind:     by_value
      - .actual_access:  read_only
        .address_space:  global
        .offset:         24
        .size:           8
        .value_kind:     global_buffer
      - .actual_access:  read_only
        .address_space:  global
        .offset:         32
        .size:           8
        .value_kind:     global_buffer
      - .actual_access:  read_only
        .address_space:  global
        .offset:         40
        .size:           8
        .value_kind:     global_buffer
      - .address_space:  global
        .offset:         48
        .size:           8
        .value_kind:     global_buffer
      - .actual_access:  write_only
        .address_space:  global
        .offset:         56
        .size:           8
        .value_kind:     global_buffer
      - .actual_access:  write_only
        .address_space:  global
        .offset:         64
        .size:           8
        .value_kind:     global_buffer
      - .offset:         72
        .size:           4
        .value_kind:     by_value
      - .offset:         76
        .size:           1
        .value_kind:     by_value
    .group_segment_fixed_size: 2048
    .kernarg_segment_align: 8
    .kernarg_segment_size: 80
    .language:       OpenCL C
    .language_version:
      - 2
      - 0
    .max_flat_workgroup_size: 256
    .name:           _ZN9rocsparseL26coomvn_aos_segmented_loopsILj256EiaaiiEEvlT0_NS_24const_host_device_scalarIT4_EEPKS1_PKT1_PKT2_PT3_PS1_PS3_21rocsparse_index_base_b
    .private_segment_fixed_size: 0
    .sgpr_count:     33
    .sgpr_spill_count: 0
    .symbol:         _ZN9rocsparseL26coomvn_aos_segmented_loopsILj256EiaaiiEEvlT0_NS_24const_host_device_scalarIT4_EEPKS1_PKT1_PKT2_PT3_PS1_PS3_21rocsparse_index_base_b.kd
    .uniform_work_group_size: 1
    .uses_dynamic_stack: false
    .vgpr_count:     31
    .vgpr_spill_count: 0
    .wavefront_size: 32
  - .args:
      - .offset:         0
        .size:           4
        .value_kind:     by_value
      - .offset:         8
        .size:           8
        .value_kind:     by_value
      - .actual_access:  read_only
        .address_space:  global
        .offset:         16
        .size:           8
        .value_kind:     global_buffer
      - .actual_access:  read_only
        .address_space:  global
        .offset:         24
        .size:           8
        .value_kind:     global_buffer
      - .address_space:  global
        .offset:         32
        .size:           8
        .value_kind:     global_buffer
      - .offset:         40
        .size:           1
        .value_kind:     by_value
    .group_segment_fixed_size: 2048
    .kernarg_segment_align: 8
    .kernarg_segment_size: 44
    .language:       OpenCL C
    .language_version:
      - 2
      - 0
    .max_flat_workgroup_size: 256
    .name:           _ZN9rocsparseL29coomvn_segmented_loops_reduceILj256EiiiEEvT0_NS_24const_host_device_scalarIT2_EEPKS1_PKS3_PT1_b
    .private_segment_fixed_size: 0
    .sgpr_count:     21
    .sgpr_spill_count: 0
    .symbol:         _ZN9rocsparseL29coomvn_segmented_loops_reduceILj256EiiiEEvT0_NS_24const_host_device_scalarIT2_EEPKS1_PKS3_PT1_b.kd
    .uniform_work_group_size: 1
    .uses_dynamic_stack: false
    .vgpr_count:     23
    .vgpr_spill_count: 0
    .wavefront_size: 32
  - .args:
      - .offset:         0
        .size:           8
        .value_kind:     by_value
      - .offset:         8
        .size:           8
        .value_kind:     by_value
      - .actual_access:  read_only
        .address_space:  global
        .offset:         16
        .size:           8
        .value_kind:     global_buffer
      - .actual_access:  read_only
        .address_space:  global
        .offset:         24
        .size:           8
        .value_kind:     global_buffer
      - .actual_access:  read_only
        .address_space:  global
        .offset:         32
        .size:           8
        .value_kind:     global_buffer
      - .address_space:  global
        .offset:         40
        .size:           8
        .value_kind:     global_buffer
      - .offset:         48
        .size:           4
        .value_kind:     by_value
      - .offset:         52
        .size:           1
        .value_kind:     by_value
    .group_segment_fixed_size: 3072
    .kernarg_segment_align: 8
    .kernarg_segment_size: 56
    .language:       OpenCL C
    .language_version:
      - 2
      - 0
    .max_flat_workgroup_size: 256
    .name:           _ZN9rocsparseL23coomvn_aos_atomic_loopsILj256ELj1ElaaiiEEvlNS_24const_host_device_scalarIT5_EEPKT1_PKT2_PKT3_PT4_21rocsparse_index_base_b
    .private_segment_fixed_size: 0
    .sgpr_count:     16
    .sgpr_spill_count: 0
    .symbol:         _ZN9rocsparseL23coomvn_aos_atomic_loopsILj256ELj1ElaaiiEEvlNS_24const_host_device_scalarIT5_EEPKT1_PKT2_PKT3_PT4_21rocsparse_index_base_b.kd
    .uniform_work_group_size: 1
    .uses_dynamic_stack: false
    .vgpr_count:     9
    .vgpr_spill_count: 0
    .wavefront_size: 32
  - .args:
      - .offset:         0
        .size:           4
        .value_kind:     by_value
      - .offset:         8
        .size:           8
        .value_kind:     by_value
      - .offset:         16
        .size:           8
        .value_kind:     by_value
      - .actual_access:  read_only
        .address_space:  global
        .offset:         24
        .size:           8
        .value_kind:     global_buffer
      - .actual_access:  read_only
        .address_space:  global
        .offset:         32
        .size:           8
        .value_kind:     global_buffer
      - .actual_access:  read_only
        .address_space:  global
        .offset:         40
        .size:           8
        .value_kind:     global_buffer
      - .address_space:  global
        .offset:         48
        .size:           8
        .value_kind:     global_buffer
      - .offset:         56
        .size:           4
        .value_kind:     by_value
      - .offset:         60
        .size:           1
        .value_kind:     by_value
      - .offset:         64
        .size:           4
        .value_kind:     hidden_block_count_x
      - .offset:         68
        .size:           4
        .value_kind:     hidden_block_count_y
      - .offset:         72
        .size:           4
        .value_kind:     hidden_block_count_z
      - .offset:         76
        .size:           2
        .value_kind:     hidden_group_size_x
      - .offset:         78
        .size:           2
        .value_kind:     hidden_group_size_y
      - .offset:         80
        .size:           2
        .value_kind:     hidden_group_size_z
      - .offset:         82
        .size:           2
        .value_kind:     hidden_remainder_x
      - .offset:         84
        .size:           2
        .value_kind:     hidden_remainder_y
      - .offset:         86
        .size:           2
        .value_kind:     hidden_remainder_z
      - .offset:         104
        .size:           8
        .value_kind:     hidden_global_offset_x
      - .offset:         112
        .size:           8
        .value_kind:     hidden_global_offset_y
      - .offset:         120
        .size:           8
        .value_kind:     hidden_global_offset_z
      - .offset:         128
        .size:           2
        .value_kind:     hidden_grid_dims
    .group_segment_fixed_size: 0
    .kernarg_segment_align: 8
    .kernarg_segment_size: 320
    .language:       OpenCL C
    .language_version:
      - 2
      - 0
    .max_flat_workgroup_size: 1024
    .name:           _ZN9rocsparseL17coomvt_aos_kernelILj1024ElaaiiEEv20rocsparse_operation_lNS_24const_host_device_scalarIT4_EEPKT0_PKT1_PKT2_PT3_21rocsparse_index_base_b
    .private_segment_fixed_size: 0
    .sgpr_count:     18
    .sgpr_spill_count: 0
    .symbol:         _ZN9rocsparseL17coomvt_aos_kernelILj1024ElaaiiEEv20rocsparse_operation_lNS_24const_host_device_scalarIT4_EEPKT0_PKT1_PKT2_PT3_21rocsparse_index_base_b.kd
    .uniform_work_group_size: 1
    .uses_dynamic_stack: false
    .vgpr_count:     7
    .vgpr_spill_count: 0
    .wavefront_size: 32
  - .args:
      - .offset:         0
        .size:           8
        .value_kind:     by_value
      - .offset:         8
        .size:           8
        .value_kind:     by_value
      - .offset:         16
        .size:           8
        .value_kind:     by_value
      - .actual_access:  read_only
        .address_space:  global
        .offset:         24
        .size:           8
        .value_kind:     global_buffer
      - .actual_access:  read_only
        .address_space:  global
        .offset:         32
        .size:           8
        .value_kind:     global_buffer
      - .actual_access:  read_only
        .address_space:  global
        .offset:         40
        .size:           8
        .value_kind:     global_buffer
      - .address_space:  global
        .offset:         48
        .size:           8
        .value_kind:     global_buffer
      - .actual_access:  write_only
        .address_space:  global
        .offset:         56
        .size:           8
        .value_kind:     global_buffer
      - .actual_access:  write_only
        .address_space:  global
        .offset:         64
        .size:           8
        .value_kind:     global_buffer
      - .offset:         72
        .size:           4
        .value_kind:     by_value
      - .offset:         76
        .size:           1
        .value_kind:     by_value
    .group_segment_fixed_size: 3072
    .kernarg_segment_align: 8
    .kernarg_segment_size: 80
    .language:       OpenCL C
    .language_version:
      - 2
      - 0
    .max_flat_workgroup_size: 256
    .name:           _ZN9rocsparseL26coomvn_aos_segmented_loopsILj256ElaaiiEEvlT0_NS_24const_host_device_scalarIT4_EEPKS1_PKT1_PKT2_PT3_PS1_PS3_21rocsparse_index_base_b
    .private_segment_fixed_size: 0
    .sgpr_count:     38
    .sgpr_spill_count: 0
    .symbol:         _ZN9rocsparseL26coomvn_aos_segmented_loopsILj256ElaaiiEEvlT0_NS_24const_host_device_scalarIT4_EEPKS1_PKT1_PKT2_PT3_PS1_PS3_21rocsparse_index_base_b.kd
    .uniform_work_group_size: 1
    .uses_dynamic_stack: false
    .vgpr_count:     34
    .vgpr_spill_count: 0
    .wavefront_size: 32
  - .args:
      - .offset:         0
        .size:           8
        .value_kind:     by_value
      - .offset:         8
        .size:           8
        .value_kind:     by_value
      - .actual_access:  read_only
        .address_space:  global
        .offset:         16
        .size:           8
        .value_kind:     global_buffer
      - .actual_access:  read_only
        .address_space:  global
        .offset:         24
        .size:           8
        .value_kind:     global_buffer
      - .address_space:  global
        .offset:         32
        .size:           8
        .value_kind:     global_buffer
      - .offset:         40
        .size:           1
        .value_kind:     by_value
    .group_segment_fixed_size: 3072
    .kernarg_segment_align: 8
    .kernarg_segment_size: 44
    .language:       OpenCL C
    .language_version:
      - 2
      - 0
    .max_flat_workgroup_size: 256
    .name:           _ZN9rocsparseL29coomvn_segmented_loops_reduceILj256EliiEEvT0_NS_24const_host_device_scalarIT2_EEPKS1_PKS3_PT1_b
    .private_segment_fixed_size: 0
    .sgpr_count:     20
    .sgpr_spill_count: 0
    .symbol:         _ZN9rocsparseL29coomvn_segmented_loops_reduceILj256EliiEEvT0_NS_24const_host_device_scalarIT2_EEPKS1_PKS3_PT1_b.kd
    .uniform_work_group_size: 1
    .uses_dynamic_stack: false
    .vgpr_count:     32
    .vgpr_spill_count: 0
    .wavefront_size: 32
  - .args:
      - .offset:         0
        .size:           8
        .value_kind:     by_value
      - .offset:         8
        .size:           8
        .value_kind:     by_value
      - .actual_access:  read_only
        .address_space:  global
        .offset:         16
        .size:           8
        .value_kind:     global_buffer
      - .actual_access:  read_only
        .address_space:  global
        .offset:         24
        .size:           8
        .value_kind:     global_buffer
      - .actual_access:  read_only
        .address_space:  global
        .offset:         32
        .size:           8
        .value_kind:     global_buffer
      - .address_space:  global
        .offset:         40
        .size:           8
        .value_kind:     global_buffer
      - .offset:         48
        .size:           4
        .value_kind:     by_value
      - .offset:         52
        .size:           1
        .value_kind:     by_value
    .group_segment_fixed_size: 2048
    .kernarg_segment_align: 8
    .kernarg_segment_size: 56
    .language:       OpenCL C
    .language_version:
      - 2
      - 0
    .max_flat_workgroup_size: 256
    .name:           _ZN9rocsparseL23coomvn_aos_atomic_loopsILj256ELj1EiaaffEEvlNS_24const_host_device_scalarIT5_EEPKT1_PKT2_PKT3_PT4_21rocsparse_index_base_b
    .private_segment_fixed_size: 0
    .sgpr_count:     14
    .sgpr_spill_count: 0
    .symbol:         _ZN9rocsparseL23coomvn_aos_atomic_loopsILj256ELj1EiaaffEEvlNS_24const_host_device_scalarIT5_EEPKT1_PKT2_PKT3_PT4_21rocsparse_index_base_b.kd
    .uniform_work_group_size: 1
    .uses_dynamic_stack: false
    .vgpr_count:     7
    .vgpr_spill_count: 0
    .wavefront_size: 32
  - .args:
      - .offset:         0
        .size:           4
        .value_kind:     by_value
      - .offset:         8
        .size:           8
        .value_kind:     by_value
      - .offset:         16
        .size:           8
        .value_kind:     by_value
      - .actual_access:  read_only
        .address_space:  global
        .offset:         24
        .size:           8
        .value_kind:     global_buffer
      - .actual_access:  read_only
        .address_space:  global
        .offset:         32
        .size:           8
        .value_kind:     global_buffer
      - .actual_access:  read_only
        .address_space:  global
        .offset:         40
        .size:           8
        .value_kind:     global_buffer
      - .address_space:  global
        .offset:         48
        .size:           8
        .value_kind:     global_buffer
      - .offset:         56
        .size:           4
        .value_kind:     by_value
      - .offset:         60
        .size:           1
        .value_kind:     by_value
      - .offset:         64
        .size:           4
        .value_kind:     hidden_block_count_x
      - .offset:         68
        .size:           4
        .value_kind:     hidden_block_count_y
      - .offset:         72
        .size:           4
        .value_kind:     hidden_block_count_z
      - .offset:         76
        .size:           2
        .value_kind:     hidden_group_size_x
      - .offset:         78
        .size:           2
        .value_kind:     hidden_group_size_y
      - .offset:         80
        .size:           2
        .value_kind:     hidden_group_size_z
      - .offset:         82
        .size:           2
        .value_kind:     hidden_remainder_x
      - .offset:         84
        .size:           2
        .value_kind:     hidden_remainder_y
      - .offset:         86
        .size:           2
        .value_kind:     hidden_remainder_z
      - .offset:         104
        .size:           8
        .value_kind:     hidden_global_offset_x
      - .offset:         112
        .size:           8
        .value_kind:     hidden_global_offset_y
      - .offset:         120
        .size:           8
        .value_kind:     hidden_global_offset_z
      - .offset:         128
        .size:           2
        .value_kind:     hidden_grid_dims
    .group_segment_fixed_size: 0
    .kernarg_segment_align: 8
    .kernarg_segment_size: 320
    .language:       OpenCL C
    .language_version:
      - 2
      - 0
    .max_flat_workgroup_size: 1024
    .name:           _ZN9rocsparseL17coomvt_aos_kernelILj1024EiaaffEEv20rocsparse_operation_lNS_24const_host_device_scalarIT4_EEPKT0_PKT1_PKT2_PT3_21rocsparse_index_base_b
    .private_segment_fixed_size: 0
    .sgpr_count:     18
    .sgpr_spill_count: 0
    .symbol:         _ZN9rocsparseL17coomvt_aos_kernelILj1024EiaaffEEv20rocsparse_operation_lNS_24const_host_device_scalarIT4_EEPKT0_PKT1_PKT2_PT3_21rocsparse_index_base_b.kd
    .uniform_work_group_size: 1
    .uses_dynamic_stack: false
    .vgpr_count:     4
    .vgpr_spill_count: 0
    .wavefront_size: 32
  - .args:
      - .offset:         0
        .size:           8
        .value_kind:     by_value
      - .offset:         8
        .size:           4
        .value_kind:     by_value
      - .offset:         16
        .size:           8
        .value_kind:     by_value
      - .actual_access:  read_only
        .address_space:  global
        .offset:         24
        .size:           8
        .value_kind:     global_buffer
      - .actual_access:  read_only
        .address_space:  global
        .offset:         32
        .size:           8
        .value_kind:     global_buffer
      - .actual_access:  read_only
        .address_space:  global
        .offset:         40
        .size:           8
        .value_kind:     global_buffer
      - .address_space:  global
        .offset:         48
        .size:           8
        .value_kind:     global_buffer
      - .actual_access:  write_only
        .address_space:  global
        .offset:         56
        .size:           8
        .value_kind:     global_buffer
      - .actual_access:  write_only
        .address_space:  global
        .offset:         64
        .size:           8
        .value_kind:     global_buffer
      - .offset:         72
        .size:           4
        .value_kind:     by_value
      - .offset:         76
        .size:           1
        .value_kind:     by_value
    .group_segment_fixed_size: 2048
    .kernarg_segment_align: 8
    .kernarg_segment_size: 80
    .language:       OpenCL C
    .language_version:
      - 2
      - 0
    .max_flat_workgroup_size: 256
    .name:           _ZN9rocsparseL26coomvn_aos_segmented_loopsILj256EiaaffEEvlT0_NS_24const_host_device_scalarIT4_EEPKS1_PKT1_PKT2_PT3_PS1_PS3_21rocsparse_index_base_b
    .private_segment_fixed_size: 0
    .sgpr_count:     34
    .sgpr_spill_count: 0
    .symbol:         _ZN9rocsparseL26coomvn_aos_segmented_loopsILj256EiaaffEEvlT0_NS_24const_host_device_scalarIT4_EEPKS1_PKT1_PKT2_PT3_PS1_PS3_21rocsparse_index_base_b.kd
    .uniform_work_group_size: 1
    .uses_dynamic_stack: false
    .vgpr_count:     30
    .vgpr_spill_count: 0
    .wavefront_size: 32
  - .args:
      - .offset:         0
        .size:           8
        .value_kind:     by_value
      - .offset:         8
        .size:           8
        .value_kind:     by_value
      - .actual_access:  read_only
        .address_space:  global
        .offset:         16
        .size:           8
        .value_kind:     global_buffer
      - .actual_access:  read_only
        .address_space:  global
        .offset:         24
        .size:           8
        .value_kind:     global_buffer
      - .actual_access:  read_only
        .address_space:  global
        .offset:         32
        .size:           8
        .value_kind:     global_buffer
      - .address_space:  global
        .offset:         40
        .size:           8
        .value_kind:     global_buffer
      - .offset:         48
        .size:           4
        .value_kind:     by_value
      - .offset:         52
        .size:           1
        .value_kind:     by_value
    .group_segment_fixed_size: 3072
    .kernarg_segment_align: 8
    .kernarg_segment_size: 56
    .language:       OpenCL C
    .language_version:
      - 2
      - 0
    .max_flat_workgroup_size: 256
    .name:           _ZN9rocsparseL23coomvn_aos_atomic_loopsILj256ELj1ElaaffEEvlNS_24const_host_device_scalarIT5_EEPKT1_PKT2_PKT3_PT4_21rocsparse_index_base_b
    .private_segment_fixed_size: 0
    .sgpr_count:     16
    .sgpr_spill_count: 0
    .symbol:         _ZN9rocsparseL23coomvn_aos_atomic_loopsILj256ELj1ElaaffEEvlNS_24const_host_device_scalarIT5_EEPKT1_PKT2_PKT3_PT4_21rocsparse_index_base_b.kd
    .uniform_work_group_size: 1
    .uses_dynamic_stack: false
    .vgpr_count:     9
    .vgpr_spill_count: 0
    .wavefront_size: 32
  - .args:
      - .offset:         0
        .size:           4
        .value_kind:     by_value
      - .offset:         8
        .size:           8
        .value_kind:     by_value
      - .offset:         16
        .size:           8
        .value_kind:     by_value
      - .actual_access:  read_only
        .address_space:  global
        .offset:         24
        .size:           8
        .value_kind:     global_buffer
      - .actual_access:  read_only
        .address_space:  global
        .offset:         32
        .size:           8
        .value_kind:     global_buffer
      - .actual_access:  read_only
        .address_space:  global
        .offset:         40
        .size:           8
        .value_kind:     global_buffer
      - .address_space:  global
        .offset:         48
        .size:           8
        .value_kind:     global_buffer
      - .offset:         56
        .size:           4
        .value_kind:     by_value
      - .offset:         60
        .size:           1
        .value_kind:     by_value
      - .offset:         64
        .size:           4
        .value_kind:     hidden_block_count_x
      - .offset:         68
        .size:           4
        .value_kind:     hidden_block_count_y
      - .offset:         72
        .size:           4
        .value_kind:     hidden_block_count_z
      - .offset:         76
        .size:           2
        .value_kind:     hidden_group_size_x
      - .offset:         78
        .size:           2
        .value_kind:     hidden_group_size_y
      - .offset:         80
        .size:           2
        .value_kind:     hidden_group_size_z
      - .offset:         82
        .size:           2
        .value_kind:     hidden_remainder_x
      - .offset:         84
        .size:           2
        .value_kind:     hidden_remainder_y
      - .offset:         86
        .size:           2
        .value_kind:     hidden_remainder_z
      - .offset:         104
        .size:           8
        .value_kind:     hidden_global_offset_x
      - .offset:         112
        .size:           8
        .value_kind:     hidden_global_offset_y
      - .offset:         120
        .size:           8
        .value_kind:     hidden_global_offset_z
      - .offset:         128
        .size:           2
        .value_kind:     hidden_grid_dims
    .group_segment_fixed_size: 0
    .kernarg_segment_align: 8
    .kernarg_segment_size: 320
    .language:       OpenCL C
    .language_version:
      - 2
      - 0
    .max_flat_workgroup_size: 1024
    .name:           _ZN9rocsparseL17coomvt_aos_kernelILj1024ElaaffEEv20rocsparse_operation_lNS_24const_host_device_scalarIT4_EEPKT0_PKT1_PKT2_PT3_21rocsparse_index_base_b
    .private_segment_fixed_size: 0
    .sgpr_count:     18
    .sgpr_spill_count: 0
    .symbol:         _ZN9rocsparseL17coomvt_aos_kernelILj1024ElaaffEEv20rocsparse_operation_lNS_24const_host_device_scalarIT4_EEPKT0_PKT1_PKT2_PT3_21rocsparse_index_base_b.kd
    .uniform_work_group_size: 1
    .uses_dynamic_stack: false
    .vgpr_count:     8
    .vgpr_spill_count: 0
    .wavefront_size: 32
  - .args:
      - .offset:         0
        .size:           8
        .value_kind:     by_value
      - .offset:         8
        .size:           8
        .value_kind:     by_value
      - .offset:         16
        .size:           8
        .value_kind:     by_value
      - .actual_access:  read_only
        .address_space:  global
        .offset:         24
        .size:           8
        .value_kind:     global_buffer
      - .actual_access:  read_only
        .address_space:  global
        .offset:         32
        .size:           8
        .value_kind:     global_buffer
      - .actual_access:  read_only
        .address_space:  global
        .offset:         40
        .size:           8
        .value_kind:     global_buffer
      - .address_space:  global
        .offset:         48
        .size:           8
        .value_kind:     global_buffer
      - .actual_access:  write_only
        .address_space:  global
        .offset:         56
        .size:           8
        .value_kind:     global_buffer
      - .actual_access:  write_only
        .address_space:  global
        .offset:         64
        .size:           8
        .value_kind:     global_buffer
      - .offset:         72
        .size:           4
        .value_kind:     by_value
      - .offset:         76
        .size:           1
        .value_kind:     by_value
    .group_segment_fixed_size: 3072
    .kernarg_segment_align: 8
    .kernarg_segment_size: 80
    .language:       OpenCL C
    .language_version:
      - 2
      - 0
    .max_flat_workgroup_size: 256
    .name:           _ZN9rocsparseL26coomvn_aos_segmented_loopsILj256ElaaffEEvlT0_NS_24const_host_device_scalarIT4_EEPKS1_PKT1_PKT2_PT3_PS1_PS3_21rocsparse_index_base_b
    .private_segment_fixed_size: 0
    .sgpr_count:     38
    .sgpr_spill_count: 0
    .symbol:         _ZN9rocsparseL26coomvn_aos_segmented_loopsILj256ElaaffEEvlT0_NS_24const_host_device_scalarIT4_EEPKS1_PKT1_PKT2_PT3_PS1_PS3_21rocsparse_index_base_b.kd
    .uniform_work_group_size: 1
    .uses_dynamic_stack: false
    .vgpr_count:     34
    .vgpr_spill_count: 0
    .wavefront_size: 32
  - .args:
      - .offset:         0
        .size:           8
        .value_kind:     by_value
      - .offset:         8
        .size:           8
        .value_kind:     by_value
      - .actual_access:  read_only
        .address_space:  global
        .offset:         16
        .size:           8
        .value_kind:     global_buffer
      - .actual_access:  read_only
        .address_space:  global
        .offset:         24
        .size:           8
        .value_kind:     global_buffer
      - .actual_access:  read_only
        .address_space:  global
        .offset:         32
        .size:           8
        .value_kind:     global_buffer
      - .address_space:  global
        .offset:         40
        .size:           8
        .value_kind:     global_buffer
      - .offset:         48
        .size:           4
        .value_kind:     by_value
      - .offset:         52
        .size:           1
        .value_kind:     by_value
    .group_segment_fixed_size: 2048
    .kernarg_segment_align: 8
    .kernarg_segment_size: 56
    .language:       OpenCL C
    .language_version:
      - 2
      - 0
    .max_flat_workgroup_size: 256
    .name:           _ZN9rocsparseL23coomvn_aos_atomic_loopsILj256ELj1EiDF16_DF16_ffEEvlNS_24const_host_device_scalarIT5_EEPKT1_PKT2_PKT3_PT4_21rocsparse_index_base_b
    .private_segment_fixed_size: 0
    .sgpr_count:     14
    .sgpr_spill_count: 0
    .symbol:         _ZN9rocsparseL23coomvn_aos_atomic_loopsILj256ELj1EiDF16_DF16_ffEEvlNS_24const_host_device_scalarIT5_EEPKT1_PKT2_PKT3_PT4_21rocsparse_index_base_b.kd
    .uniform_work_group_size: 1
    .uses_dynamic_stack: false
    .vgpr_count:     7
    .vgpr_spill_count: 0
    .wavefront_size: 32
  - .args:
      - .offset:         0
        .size:           4
        .value_kind:     by_value
      - .offset:         8
        .size:           8
        .value_kind:     by_value
      - .offset:         16
        .size:           8
        .value_kind:     by_value
      - .actual_access:  read_only
        .address_space:  global
        .offset:         24
        .size:           8
        .value_kind:     global_buffer
      - .actual_access:  read_only
        .address_space:  global
        .offset:         32
        .size:           8
        .value_kind:     global_buffer
      - .actual_access:  read_only
        .address_space:  global
        .offset:         40
        .size:           8
        .value_kind:     global_buffer
      - .address_space:  global
        .offset:         48
        .size:           8
        .value_kind:     global_buffer
      - .offset:         56
        .size:           4
        .value_kind:     by_value
      - .offset:         60
        .size:           1
        .value_kind:     by_value
      - .offset:         64
        .size:           4
        .value_kind:     hidden_block_count_x
      - .offset:         68
        .size:           4
        .value_kind:     hidden_block_count_y
      - .offset:         72
        .size:           4
        .value_kind:     hidden_block_count_z
      - .offset:         76
        .size:           2
        .value_kind:     hidden_group_size_x
      - .offset:         78
        .size:           2
        .value_kind:     hidden_group_size_y
      - .offset:         80
        .size:           2
        .value_kind:     hidden_group_size_z
      - .offset:         82
        .size:           2
        .value_kind:     hidden_remainder_x
      - .offset:         84
        .size:           2
        .value_kind:     hidden_remainder_y
      - .offset:         86
        .size:           2
        .value_kind:     hidden_remainder_z
      - .offset:         104
        .size:           8
        .value_kind:     hidden_global_offset_x
      - .offset:         112
        .size:           8
        .value_kind:     hidden_global_offset_y
      - .offset:         120
        .size:           8
        .value_kind:     hidden_global_offset_z
      - .offset:         128
        .size:           2
        .value_kind:     hidden_grid_dims
    .group_segment_fixed_size: 0
    .kernarg_segment_align: 8
    .kernarg_segment_size: 320
    .language:       OpenCL C
    .language_version:
      - 2
      - 0
    .max_flat_workgroup_size: 1024
    .name:           _ZN9rocsparseL17coomvt_aos_kernelILj1024EiDF16_DF16_ffEEv20rocsparse_operation_lNS_24const_host_device_scalarIT4_EEPKT0_PKT1_PKT2_PT3_21rocsparse_index_base_b
    .private_segment_fixed_size: 0
    .sgpr_count:     18
    .sgpr_spill_count: 0
    .symbol:         _ZN9rocsparseL17coomvt_aos_kernelILj1024EiDF16_DF16_ffEEv20rocsparse_operation_lNS_24const_host_device_scalarIT4_EEPKT0_PKT1_PKT2_PT3_21rocsparse_index_base_b.kd
    .uniform_work_group_size: 1
    .uses_dynamic_stack: false
    .vgpr_count:     4
    .vgpr_spill_count: 0
    .wavefront_size: 32
  - .args:
      - .offset:         0
        .size:           8
        .value_kind:     by_value
      - .offset:         8
        .size:           4
        .value_kind:     by_value
      - .offset:         16
        .size:           8
        .value_kind:     by_value
      - .actual_access:  read_only
        .address_space:  global
        .offset:         24
        .size:           8
        .value_kind:     global_buffer
      - .actual_access:  read_only
        .address_space:  global
        .offset:         32
        .size:           8
        .value_kind:     global_buffer
      - .actual_access:  read_only
        .address_space:  global
        .offset:         40
        .size:           8
        .value_kind:     global_buffer
      - .address_space:  global
        .offset:         48
        .size:           8
        .value_kind:     global_buffer
      - .actual_access:  write_only
        .address_space:  global
        .offset:         56
        .size:           8
        .value_kind:     global_buffer
      - .actual_access:  write_only
        .address_space:  global
        .offset:         64
        .size:           8
        .value_kind:     global_buffer
      - .offset:         72
        .size:           4
        .value_kind:     by_value
      - .offset:         76
        .size:           1
        .value_kind:     by_value
    .group_segment_fixed_size: 2048
    .kernarg_segment_align: 8
    .kernarg_segment_size: 80
    .language:       OpenCL C
    .language_version:
      - 2
      - 0
    .max_flat_workgroup_size: 256
    .name:           _ZN9rocsparseL26coomvn_aos_segmented_loopsILj256EiDF16_DF16_ffEEvlT0_NS_24const_host_device_scalarIT4_EEPKS1_PKT1_PKT2_PT3_PS1_PS3_21rocsparse_index_base_b
    .private_segment_fixed_size: 0
    .sgpr_count:     30
    .sgpr_spill_count: 0
    .symbol:         _ZN9rocsparseL26coomvn_aos_segmented_loopsILj256EiDF16_DF16_ffEEvlT0_NS_24const_host_device_scalarIT4_EEPKS1_PKT1_PKT2_PT3_PS1_PS3_21rocsparse_index_base_b.kd
    .uniform_work_group_size: 1
    .uses_dynamic_stack: false
    .vgpr_count:     31
    .vgpr_spill_count: 0
    .wavefront_size: 32
  - .args:
      - .offset:         0
        .size:           8
        .value_kind:     by_value
      - .offset:         8
        .size:           8
        .value_kind:     by_value
      - .actual_access:  read_only
        .address_space:  global
        .offset:         16
        .size:           8
        .value_kind:     global_buffer
      - .actual_access:  read_only
        .address_space:  global
        .offset:         24
        .size:           8
        .value_kind:     global_buffer
      - .actual_access:  read_only
        .address_space:  global
        .offset:         32
        .size:           8
        .value_kind:     global_buffer
      - .address_space:  global
        .offset:         40
        .size:           8
        .value_kind:     global_buffer
      - .offset:         48
        .size:           4
        .value_kind:     by_value
      - .offset:         52
        .size:           1
        .value_kind:     by_value
    .group_segment_fixed_size: 3072
    .kernarg_segment_align: 8
    .kernarg_segment_size: 56
    .language:       OpenCL C
    .language_version:
      - 2
      - 0
    .max_flat_workgroup_size: 256
    .name:           _ZN9rocsparseL23coomvn_aos_atomic_loopsILj256ELj1ElDF16_DF16_ffEEvlNS_24const_host_device_scalarIT5_EEPKT1_PKT2_PKT3_PT4_21rocsparse_index_base_b
    .private_segment_fixed_size: 0
    .sgpr_count:     16
    .sgpr_spill_count: 0
    .symbol:         _ZN9rocsparseL23coomvn_aos_atomic_loopsILj256ELj1ElDF16_DF16_ffEEvlNS_24const_host_device_scalarIT5_EEPKT1_PKT2_PKT3_PT4_21rocsparse_index_base_b.kd
    .uniform_work_group_size: 1
    .uses_dynamic_stack: false
    .vgpr_count:     9
    .vgpr_spill_count: 0
    .wavefront_size: 32
  - .args:
      - .offset:         0
        .size:           4
        .value_kind:     by_value
      - .offset:         8
        .size:           8
        .value_kind:     by_value
      - .offset:         16
        .size:           8
        .value_kind:     by_value
      - .actual_access:  read_only
        .address_space:  global
        .offset:         24
        .size:           8
        .value_kind:     global_buffer
      - .actual_access:  read_only
        .address_space:  global
        .offset:         32
        .size:           8
        .value_kind:     global_buffer
      - .actual_access:  read_only
        .address_space:  global
        .offset:         40
        .size:           8
        .value_kind:     global_buffer
      - .address_space:  global
        .offset:         48
        .size:           8
        .value_kind:     global_buffer
      - .offset:         56
        .size:           4
        .value_kind:     by_value
      - .offset:         60
        .size:           1
        .value_kind:     by_value
      - .offset:         64
        .size:           4
        .value_kind:     hidden_block_count_x
      - .offset:         68
        .size:           4
        .value_kind:     hidden_block_count_y
      - .offset:         72
        .size:           4
        .value_kind:     hidden_block_count_z
      - .offset:         76
        .size:           2
        .value_kind:     hidden_group_size_x
      - .offset:         78
        .size:           2
        .value_kind:     hidden_group_size_y
      - .offset:         80
        .size:           2
        .value_kind:     hidden_group_size_z
      - .offset:         82
        .size:           2
        .value_kind:     hidden_remainder_x
      - .offset:         84
        .size:           2
        .value_kind:     hidden_remainder_y
      - .offset:         86
        .size:           2
        .value_kind:     hidden_remainder_z
      - .offset:         104
        .size:           8
        .value_kind:     hidden_global_offset_x
      - .offset:         112
        .size:           8
        .value_kind:     hidden_global_offset_y
      - .offset:         120
        .size:           8
        .value_kind:     hidden_global_offset_z
      - .offset:         128
        .size:           2
        .value_kind:     hidden_grid_dims
    .group_segment_fixed_size: 0
    .kernarg_segment_align: 8
    .kernarg_segment_size: 320
    .language:       OpenCL C
    .language_version:
      - 2
      - 0
    .max_flat_workgroup_size: 1024
    .name:           _ZN9rocsparseL17coomvt_aos_kernelILj1024ElDF16_DF16_ffEEv20rocsparse_operation_lNS_24const_host_device_scalarIT4_EEPKT0_PKT1_PKT2_PT3_21rocsparse_index_base_b
    .private_segment_fixed_size: 0
    .sgpr_count:     18
    .sgpr_spill_count: 0
    .symbol:         _ZN9rocsparseL17coomvt_aos_kernelILj1024ElDF16_DF16_ffEEv20rocsparse_operation_lNS_24const_host_device_scalarIT4_EEPKT0_PKT1_PKT2_PT3_21rocsparse_index_base_b.kd
    .uniform_work_group_size: 1
    .uses_dynamic_stack: false
    .vgpr_count:     7
    .vgpr_spill_count: 0
    .wavefront_size: 32
  - .args:
      - .offset:         0
        .size:           8
        .value_kind:     by_value
      - .offset:         8
        .size:           8
        .value_kind:     by_value
      - .offset:         16
        .size:           8
        .value_kind:     by_value
      - .actual_access:  read_only
        .address_space:  global
        .offset:         24
        .size:           8
        .value_kind:     global_buffer
      - .actual_access:  read_only
        .address_space:  global
        .offset:         32
        .size:           8
        .value_kind:     global_buffer
      - .actual_access:  read_only
        .address_space:  global
        .offset:         40
        .size:           8
        .value_kind:     global_buffer
      - .address_space:  global
        .offset:         48
        .size:           8
        .value_kind:     global_buffer
      - .actual_access:  write_only
        .address_space:  global
        .offset:         56
        .size:           8
        .value_kind:     global_buffer
      - .actual_access:  write_only
        .address_space:  global
        .offset:         64
        .size:           8
        .value_kind:     global_buffer
      - .offset:         72
        .size:           4
        .value_kind:     by_value
      - .offset:         76
        .size:           1
        .value_kind:     by_value
    .group_segment_fixed_size: 3072
    .kernarg_segment_align: 8
    .kernarg_segment_size: 80
    .language:       OpenCL C
    .language_version:
      - 2
      - 0
    .max_flat_workgroup_size: 256
    .name:           _ZN9rocsparseL26coomvn_aos_segmented_loopsILj256ElDF16_DF16_ffEEvlT0_NS_24const_host_device_scalarIT4_EEPKS1_PKT1_PKT2_PT3_PS1_PS3_21rocsparse_index_base_b
    .private_segment_fixed_size: 0
    .sgpr_count:     40
    .sgpr_spill_count: 0
    .symbol:         _ZN9rocsparseL26coomvn_aos_segmented_loopsILj256ElDF16_DF16_ffEEvlT0_NS_24const_host_device_scalarIT4_EEPKS1_PKT1_PKT2_PT3_PS1_PS3_21rocsparse_index_base_b.kd
    .uniform_work_group_size: 1
    .uses_dynamic_stack: false
    .vgpr_count:     36
    .vgpr_spill_count: 0
    .wavefront_size: 32
  - .args:
      - .offset:         0
        .size:           8
        .value_kind:     by_value
      - .offset:         8
        .size:           8
        .value_kind:     by_value
      - .actual_access:  read_only
        .address_space:  global
        .offset:         16
        .size:           8
        .value_kind:     global_buffer
      - .actual_access:  read_only
        .address_space:  global
        .offset:         24
        .size:           8
        .value_kind:     global_buffer
      - .actual_access:  read_only
        .address_space:  global
        .offset:         32
        .size:           8
        .value_kind:     global_buffer
      - .address_space:  global
        .offset:         40
        .size:           8
        .value_kind:     global_buffer
      - .offset:         48
        .size:           4
        .value_kind:     by_value
      - .offset:         52
        .size:           1
        .value_kind:     by_value
    .group_segment_fixed_size: 2048
    .kernarg_segment_align: 8
    .kernarg_segment_size: 56
    .language:       OpenCL C
    .language_version:
      - 2
      - 0
    .max_flat_workgroup_size: 256
    .name:           _ZN9rocsparseL23coomvn_aos_atomic_loopsILj256ELj1Ei18rocsparse_bfloat16S1_ffEEvlNS_24const_host_device_scalarIT5_EEPKT1_PKT2_PKT3_PT4_21rocsparse_index_base_b
    .private_segment_fixed_size: 0
    .sgpr_count:     14
    .sgpr_spill_count: 0
    .symbol:         _ZN9rocsparseL23coomvn_aos_atomic_loopsILj256ELj1Ei18rocsparse_bfloat16S1_ffEEvlNS_24const_host_device_scalarIT5_EEPKT1_PKT2_PKT3_PT4_21rocsparse_index_base_b.kd
    .uniform_work_group_size: 1
    .uses_dynamic_stack: false
    .vgpr_count:     7
    .vgpr_spill_count: 0
    .wavefront_size: 32
  - .args:
      - .offset:         0
        .size:           4
        .value_kind:     by_value
      - .offset:         8
        .size:           8
        .value_kind:     by_value
      - .offset:         16
        .size:           8
        .value_kind:     by_value
      - .actual_access:  read_only
        .address_space:  global
        .offset:         24
        .size:           8
        .value_kind:     global_buffer
      - .actual_access:  read_only
        .address_space:  global
        .offset:         32
        .size:           8
        .value_kind:     global_buffer
      - .actual_access:  read_only
        .address_space:  global
        .offset:         40
        .size:           8
        .value_kind:     global_buffer
      - .address_space:  global
        .offset:         48
        .size:           8
        .value_kind:     global_buffer
      - .offset:         56
        .size:           4
        .value_kind:     by_value
      - .offset:         60
        .size:           1
        .value_kind:     by_value
      - .offset:         64
        .size:           4
        .value_kind:     hidden_block_count_x
      - .offset:         68
        .size:           4
        .value_kind:     hidden_block_count_y
      - .offset:         72
        .size:           4
        .value_kind:     hidden_block_count_z
      - .offset:         76
        .size:           2
        .value_kind:     hidden_group_size_x
      - .offset:         78
        .size:           2
        .value_kind:     hidden_group_size_y
      - .offset:         80
        .size:           2
        .value_kind:     hidden_group_size_z
      - .offset:         82
        .size:           2
        .value_kind:     hidden_remainder_x
      - .offset:         84
        .size:           2
        .value_kind:     hidden_remainder_y
      - .offset:         86
        .size:           2
        .value_kind:     hidden_remainder_z
      - .offset:         104
        .size:           8
        .value_kind:     hidden_global_offset_x
      - .offset:         112
        .size:           8
        .value_kind:     hidden_global_offset_y
      - .offset:         120
        .size:           8
        .value_kind:     hidden_global_offset_z
      - .offset:         128
        .size:           2
        .value_kind:     hidden_grid_dims
    .group_segment_fixed_size: 0
    .kernarg_segment_align: 8
    .kernarg_segment_size: 320
    .language:       OpenCL C
    .language_version:
      - 2
      - 0
    .max_flat_workgroup_size: 1024
    .name:           _ZN9rocsparseL17coomvt_aos_kernelILj1024Ei18rocsparse_bfloat16S1_ffEEv20rocsparse_operation_lNS_24const_host_device_scalarIT4_EEPKT0_PKT1_PKT2_PT3_21rocsparse_index_base_b
    .private_segment_fixed_size: 0
    .sgpr_count:     18
    .sgpr_spill_count: 0
    .symbol:         _ZN9rocsparseL17coomvt_aos_kernelILj1024Ei18rocsparse_bfloat16S1_ffEEv20rocsparse_operation_lNS_24const_host_device_scalarIT4_EEPKT0_PKT1_PKT2_PT3_21rocsparse_index_base_b.kd
    .uniform_work_group_size: 1
    .uses_dynamic_stack: false
    .vgpr_count:     4
    .vgpr_spill_count: 0
    .wavefront_size: 32
  - .args:
      - .offset:         0
        .size:           8
        .value_kind:     by_value
      - .offset:         8
        .size:           4
        .value_kind:     by_value
      - .offset:         16
        .size:           8
        .value_kind:     by_value
      - .actual_access:  read_only
        .address_space:  global
        .offset:         24
        .size:           8
        .value_kind:     global_buffer
      - .actual_access:  read_only
        .address_space:  global
        .offset:         32
        .size:           8
        .value_kind:     global_buffer
      - .actual_access:  read_only
        .address_space:  global
        .offset:         40
        .size:           8
        .value_kind:     global_buffer
      - .address_space:  global
        .offset:         48
        .size:           8
        .value_kind:     global_buffer
      - .actual_access:  write_only
        .address_space:  global
        .offset:         56
        .size:           8
        .value_kind:     global_buffer
      - .actual_access:  write_only
        .address_space:  global
        .offset:         64
        .size:           8
        .value_kind:     global_buffer
      - .offset:         72
        .size:           4
        .value_kind:     by_value
      - .offset:         76
        .size:           1
        .value_kind:     by_value
    .group_segment_fixed_size: 2048
    .kernarg_segment_align: 8
    .kernarg_segment_size: 80
    .language:       OpenCL C
    .language_version:
      - 2
      - 0
    .max_flat_workgroup_size: 256
    .name:           _ZN9rocsparseL26coomvn_aos_segmented_loopsILj256Ei18rocsparse_bfloat16S1_ffEEvlT0_NS_24const_host_device_scalarIT4_EEPKS2_PKT1_PKT2_PT3_PS2_PS4_21rocsparse_index_base_b
    .private_segment_fixed_size: 0
    .sgpr_count:     30
    .sgpr_spill_count: 0
    .symbol:         _ZN9rocsparseL26coomvn_aos_segmented_loopsILj256Ei18rocsparse_bfloat16S1_ffEEvlT0_NS_24const_host_device_scalarIT4_EEPKS2_PKT1_PKT2_PT3_PS2_PS4_21rocsparse_index_base_b.kd
    .uniform_work_group_size: 1
    .uses_dynamic_stack: false
    .vgpr_count:     31
    .vgpr_spill_count: 0
    .wavefront_size: 32
  - .args:
      - .offset:         0
        .size:           8
        .value_kind:     by_value
      - .offset:         8
        .size:           8
        .value_kind:     by_value
      - .actual_access:  read_only
        .address_space:  global
        .offset:         16
        .size:           8
        .value_kind:     global_buffer
      - .actual_access:  read_only
        .address_space:  global
        .offset:         24
        .size:           8
        .value_kind:     global_buffer
      - .actual_access:  read_only
        .address_space:  global
        .offset:         32
        .size:           8
        .value_kind:     global_buffer
      - .address_space:  global
        .offset:         40
        .size:           8
        .value_kind:     global_buffer
      - .offset:         48
        .size:           4
        .value_kind:     by_value
      - .offset:         52
        .size:           1
        .value_kind:     by_value
    .group_segment_fixed_size: 3072
    .kernarg_segment_align: 8
    .kernarg_segment_size: 56
    .language:       OpenCL C
    .language_version:
      - 2
      - 0
    .max_flat_workgroup_size: 256
    .name:           _ZN9rocsparseL23coomvn_aos_atomic_loopsILj256ELj1El18rocsparse_bfloat16S1_ffEEvlNS_24const_host_device_scalarIT5_EEPKT1_PKT2_PKT3_PT4_21rocsparse_index_base_b
    .private_segment_fixed_size: 0
    .sgpr_count:     16
    .sgpr_spill_count: 0
    .symbol:         _ZN9rocsparseL23coomvn_aos_atomic_loopsILj256ELj1El18rocsparse_bfloat16S1_ffEEvlNS_24const_host_device_scalarIT5_EEPKT1_PKT2_PKT3_PT4_21rocsparse_index_base_b.kd
    .uniform_work_group_size: 1
    .uses_dynamic_stack: false
    .vgpr_count:     9
    .vgpr_spill_count: 0
    .wavefront_size: 32
  - .args:
      - .offset:         0
        .size:           4
        .value_kind:     by_value
      - .offset:         8
        .size:           8
        .value_kind:     by_value
      - .offset:         16
        .size:           8
        .value_kind:     by_value
      - .actual_access:  read_only
        .address_space:  global
        .offset:         24
        .size:           8
        .value_kind:     global_buffer
      - .actual_access:  read_only
        .address_space:  global
        .offset:         32
        .size:           8
        .value_kind:     global_buffer
      - .actual_access:  read_only
        .address_space:  global
        .offset:         40
        .size:           8
        .value_kind:     global_buffer
      - .address_space:  global
        .offset:         48
        .size:           8
        .value_kind:     global_buffer
      - .offset:         56
        .size:           4
        .value_kind:     by_value
      - .offset:         60
        .size:           1
        .value_kind:     by_value
      - .offset:         64
        .size:           4
        .value_kind:     hidden_block_count_x
      - .offset:         68
        .size:           4
        .value_kind:     hidden_block_count_y
      - .offset:         72
        .size:           4
        .value_kind:     hidden_block_count_z
      - .offset:         76
        .size:           2
        .value_kind:     hidden_group_size_x
      - .offset:         78
        .size:           2
        .value_kind:     hidden_group_size_y
      - .offset:         80
        .size:           2
        .value_kind:     hidden_group_size_z
      - .offset:         82
        .size:           2
        .value_kind:     hidden_remainder_x
      - .offset:         84
        .size:           2
        .value_kind:     hidden_remainder_y
      - .offset:         86
        .size:           2
        .value_kind:     hidden_remainder_z
      - .offset:         104
        .size:           8
        .value_kind:     hidden_global_offset_x
      - .offset:         112
        .size:           8
        .value_kind:     hidden_global_offset_y
      - .offset:         120
        .size:           8
        .value_kind:     hidden_global_offset_z
      - .offset:         128
        .size:           2
        .value_kind:     hidden_grid_dims
    .group_segment_fixed_size: 0
    .kernarg_segment_align: 8
    .kernarg_segment_size: 320
    .language:       OpenCL C
    .language_version:
      - 2
      - 0
    .max_flat_workgroup_size: 1024
    .name:           _ZN9rocsparseL17coomvt_aos_kernelILj1024El18rocsparse_bfloat16S1_ffEEv20rocsparse_operation_lNS_24const_host_device_scalarIT4_EEPKT0_PKT1_PKT2_PT3_21rocsparse_index_base_b
    .private_segment_fixed_size: 0
    .sgpr_count:     18
    .sgpr_spill_count: 0
    .symbol:         _ZN9rocsparseL17coomvt_aos_kernelILj1024El18rocsparse_bfloat16S1_ffEEv20rocsparse_operation_lNS_24const_host_device_scalarIT4_EEPKT0_PKT1_PKT2_PT3_21rocsparse_index_base_b.kd
    .uniform_work_group_size: 1
    .uses_dynamic_stack: false
    .vgpr_count:     7
    .vgpr_spill_count: 0
    .wavefront_size: 32
  - .args:
      - .offset:         0
        .size:           8
        .value_kind:     by_value
      - .offset:         8
        .size:           8
        .value_kind:     by_value
      - .offset:         16
        .size:           8
        .value_kind:     by_value
      - .actual_access:  read_only
        .address_space:  global
        .offset:         24
        .size:           8
        .value_kind:     global_buffer
      - .actual_access:  read_only
        .address_space:  global
        .offset:         32
        .size:           8
        .value_kind:     global_buffer
      - .actual_access:  read_only
        .address_space:  global
        .offset:         40
        .size:           8
        .value_kind:     global_buffer
      - .address_space:  global
        .offset:         48
        .size:           8
        .value_kind:     global_buffer
      - .actual_access:  write_only
        .address_space:  global
        .offset:         56
        .size:           8
        .value_kind:     global_buffer
      - .actual_access:  write_only
        .address_space:  global
        .offset:         64
        .size:           8
        .value_kind:     global_buffer
      - .offset:         72
        .size:           4
        .value_kind:     by_value
      - .offset:         76
        .size:           1
        .value_kind:     by_value
    .group_segment_fixed_size: 3072
    .kernarg_segment_align: 8
    .kernarg_segment_size: 80
    .language:       OpenCL C
    .language_version:
      - 2
      - 0
    .max_flat_workgroup_size: 256
    .name:           _ZN9rocsparseL26coomvn_aos_segmented_loopsILj256El18rocsparse_bfloat16S1_ffEEvlT0_NS_24const_host_device_scalarIT4_EEPKS2_PKT1_PKT2_PT3_PS2_PS4_21rocsparse_index_base_b
    .private_segment_fixed_size: 0
    .sgpr_count:     40
    .sgpr_spill_count: 0
    .symbol:         _ZN9rocsparseL26coomvn_aos_segmented_loopsILj256El18rocsparse_bfloat16S1_ffEEvlT0_NS_24const_host_device_scalarIT4_EEPKS2_PKT1_PKT2_PT3_PS2_PS4_21rocsparse_index_base_b.kd
    .uniform_work_group_size: 1
    .uses_dynamic_stack: false
    .vgpr_count:     36
    .vgpr_spill_count: 0
    .wavefront_size: 32
  - .args:
      - .offset:         0
        .size:           8
        .value_kind:     by_value
      - .offset:         8
        .size:           8
        .value_kind:     by_value
      - .actual_access:  read_only
        .address_space:  global
        .offset:         16
        .size:           8
        .value_kind:     global_buffer
      - .actual_access:  read_only
        .address_space:  global
        .offset:         24
        .size:           8
        .value_kind:     global_buffer
      - .actual_access:  read_only
        .address_space:  global
        .offset:         32
        .size:           8
        .value_kind:     global_buffer
      - .address_space:  global
        .offset:         40
        .size:           8
        .value_kind:     global_buffer
      - .offset:         48
        .size:           4
        .value_kind:     by_value
      - .offset:         52
        .size:           1
        .value_kind:     by_value
    .group_segment_fixed_size: 3072
    .kernarg_segment_align: 8
    .kernarg_segment_size: 56
    .language:       OpenCL C
    .language_version:
      - 2
      - 0
    .max_flat_workgroup_size: 256
    .name:           _ZN9rocsparseL23coomvn_aos_atomic_loopsILj256ELj1Eif21rocsparse_complex_numIfES2_S2_EEvlNS_24const_host_device_scalarIT5_EEPKT1_PKT2_PKT3_PT4_21rocsparse_index_base_b
    .private_segment_fixed_size: 0
    .sgpr_count:     14
    .sgpr_spill_count: 0
    .symbol:         _ZN9rocsparseL23coomvn_aos_atomic_loopsILj256ELj1Eif21rocsparse_complex_numIfES2_S2_EEvlNS_24const_host_device_scalarIT5_EEPKT1_PKT2_PKT3_PT4_21rocsparse_index_base_b.kd
    .uniform_work_group_size: 1
    .uses_dynamic_stack: false
    .vgpr_count:     16
    .vgpr_spill_count: 0
    .wavefront_size: 32
  - .args:
      - .offset:         0
        .size:           4
        .value_kind:     by_value
      - .offset:         8
        .size:           8
        .value_kind:     by_value
      - .offset:         16
        .size:           8
        .value_kind:     by_value
      - .actual_access:  read_only
        .address_space:  global
        .offset:         24
        .size:           8
        .value_kind:     global_buffer
      - .actual_access:  read_only
        .address_space:  global
        .offset:         32
        .size:           8
        .value_kind:     global_buffer
      - .actual_access:  read_only
        .address_space:  global
        .offset:         40
        .size:           8
        .value_kind:     global_buffer
      - .address_space:  global
        .offset:         48
        .size:           8
        .value_kind:     global_buffer
      - .offset:         56
        .size:           4
        .value_kind:     by_value
      - .offset:         60
        .size:           1
        .value_kind:     by_value
      - .offset:         64
        .size:           4
        .value_kind:     hidden_block_count_x
      - .offset:         68
        .size:           4
        .value_kind:     hidden_block_count_y
      - .offset:         72
        .size:           4
        .value_kind:     hidden_block_count_z
      - .offset:         76
        .size:           2
        .value_kind:     hidden_group_size_x
      - .offset:         78
        .size:           2
        .value_kind:     hidden_group_size_y
      - .offset:         80
        .size:           2
        .value_kind:     hidden_group_size_z
      - .offset:         82
        .size:           2
        .value_kind:     hidden_remainder_x
      - .offset:         84
        .size:           2
        .value_kind:     hidden_remainder_y
      - .offset:         86
        .size:           2
        .value_kind:     hidden_remainder_z
      - .offset:         104
        .size:           8
        .value_kind:     hidden_global_offset_x
      - .offset:         112
        .size:           8
        .value_kind:     hidden_global_offset_y
      - .offset:         120
        .size:           8
        .value_kind:     hidden_global_offset_z
      - .offset:         128
        .size:           2
        .value_kind:     hidden_grid_dims
    .group_segment_fixed_size: 0
    .kernarg_segment_align: 8
    .kernarg_segment_size: 320
    .language:       OpenCL C
    .language_version:
      - 2
      - 0
    .max_flat_workgroup_size: 1024
    .name:           _ZN9rocsparseL17coomvt_aos_kernelILj1024Eif21rocsparse_complex_numIfES2_S2_EEv20rocsparse_operation_lNS_24const_host_device_scalarIT4_EEPKT0_PKT1_PKT2_PT3_21rocsparse_index_base_b
    .private_segment_fixed_size: 0
    .sgpr_count:     22
    .sgpr_spill_count: 0
    .symbol:         _ZN9rocsparseL17coomvt_aos_kernelILj1024Eif21rocsparse_complex_numIfES2_S2_EEv20rocsparse_operation_lNS_24const_host_device_scalarIT4_EEPKT0_PKT1_PKT2_PT3_21rocsparse_index_base_b.kd
    .uniform_work_group_size: 1
    .uses_dynamic_stack: false
    .vgpr_count:     10
    .vgpr_spill_count: 0
    .wavefront_size: 32
  - .args:
      - .offset:         0
        .size:           8
        .value_kind:     by_value
      - .offset:         8
        .size:           4
        .value_kind:     by_value
      - .offset:         16
        .size:           8
        .value_kind:     by_value
      - .actual_access:  read_only
        .address_space:  global
        .offset:         24
        .size:           8
        .value_kind:     global_buffer
      - .actual_access:  read_only
        .address_space:  global
        .offset:         32
        .size:           8
        .value_kind:     global_buffer
      - .actual_access:  read_only
        .address_space:  global
        .offset:         40
        .size:           8
        .value_kind:     global_buffer
      - .address_space:  global
        .offset:         48
        .size:           8
        .value_kind:     global_buffer
      - .actual_access:  write_only
        .address_space:  global
        .offset:         56
        .size:           8
        .value_kind:     global_buffer
      - .actual_access:  write_only
        .address_space:  global
        .offset:         64
        .size:           8
        .value_kind:     global_buffer
      - .offset:         72
        .size:           4
        .value_kind:     by_value
      - .offset:         76
        .size:           1
        .value_kind:     by_value
    .group_segment_fixed_size: 3072
    .kernarg_segment_align: 8
    .kernarg_segment_size: 80
    .language:       OpenCL C
    .language_version:
      - 2
      - 0
    .max_flat_workgroup_size: 256
    .name:           _ZN9rocsparseL26coomvn_aos_segmented_loopsILj256Eif21rocsparse_complex_numIfES2_S2_EEvlT0_NS_24const_host_device_scalarIT4_EEPKS3_PKT1_PKT2_PT3_PS3_PS5_21rocsparse_index_base_b
    .private_segment_fixed_size: 0
    .sgpr_count:     28
    .sgpr_spill_count: 0
    .symbol:         _ZN9rocsparseL26coomvn_aos_segmented_loopsILj256Eif21rocsparse_complex_numIfES2_S2_EEvlT0_NS_24const_host_device_scalarIT4_EEPKS3_PKT1_PKT2_PT3_PS3_PS5_21rocsparse_index_base_b.kd
    .uniform_work_group_size: 1
    .uses_dynamic_stack: false
    .vgpr_count:     40
    .vgpr_spill_count: 0
    .wavefront_size: 32
  - .args:
      - .offset:         0
        .size:           8
        .value_kind:     by_value
      - .offset:         8
        .size:           8
        .value_kind:     by_value
      - .actual_access:  read_only
        .address_space:  global
        .offset:         16
        .size:           8
        .value_kind:     global_buffer
      - .actual_access:  read_only
        .address_space:  global
        .offset:         24
        .size:           8
        .value_kind:     global_buffer
      - .actual_access:  read_only
        .address_space:  global
        .offset:         32
        .size:           8
        .value_kind:     global_buffer
      - .address_space:  global
        .offset:         40
        .size:           8
        .value_kind:     global_buffer
      - .offset:         48
        .size:           4
        .value_kind:     by_value
      - .offset:         52
        .size:           1
        .value_kind:     by_value
    .group_segment_fixed_size: 4096
    .kernarg_segment_align: 8
    .kernarg_segment_size: 56
    .language:       OpenCL C
    .language_version:
      - 2
      - 0
    .max_flat_workgroup_size: 256
    .name:           _ZN9rocsparseL23coomvn_aos_atomic_loopsILj256ELj1Elf21rocsparse_complex_numIfES2_S2_EEvlNS_24const_host_device_scalarIT5_EEPKT1_PKT2_PKT3_PT4_21rocsparse_index_base_b
    .private_segment_fixed_size: 0
    .sgpr_count:     14
    .sgpr_spill_count: 0
    .symbol:         _ZN9rocsparseL23coomvn_aos_atomic_loopsILj256ELj1Elf21rocsparse_complex_numIfES2_S2_EEvlNS_24const_host_device_scalarIT5_EEPKT1_PKT2_PKT3_PT4_21rocsparse_index_base_b.kd
    .uniform_work_group_size: 1
    .uses_dynamic_stack: false
    .vgpr_count:     14
    .vgpr_spill_count: 0
    .wavefront_size: 32
  - .args:
      - .offset:         0
        .size:           4
        .value_kind:     by_value
      - .offset:         8
        .size:           8
        .value_kind:     by_value
      - .offset:         16
        .size:           8
        .value_kind:     by_value
      - .actual_access:  read_only
        .address_space:  global
        .offset:         24
        .size:           8
        .value_kind:     global_buffer
      - .actual_access:  read_only
        .address_space:  global
        .offset:         32
        .size:           8
        .value_kind:     global_buffer
      - .actual_access:  read_only
        .address_space:  global
        .offset:         40
        .size:           8
        .value_kind:     global_buffer
      - .address_space:  global
        .offset:         48
        .size:           8
        .value_kind:     global_buffer
      - .offset:         56
        .size:           4
        .value_kind:     by_value
      - .offset:         60
        .size:           1
        .value_kind:     by_value
      - .offset:         64
        .size:           4
        .value_kind:     hidden_block_count_x
      - .offset:         68
        .size:           4
        .value_kind:     hidden_block_count_y
      - .offset:         72
        .size:           4
        .value_kind:     hidden_block_count_z
      - .offset:         76
        .size:           2
        .value_kind:     hidden_group_size_x
      - .offset:         78
        .size:           2
        .value_kind:     hidden_group_size_y
      - .offset:         80
        .size:           2
        .value_kind:     hidden_group_size_z
      - .offset:         82
        .size:           2
        .value_kind:     hidden_remainder_x
      - .offset:         84
        .size:           2
        .value_kind:     hidden_remainder_y
      - .offset:         86
        .size:           2
        .value_kind:     hidden_remainder_z
      - .offset:         104
        .size:           8
        .value_kind:     hidden_global_offset_x
      - .offset:         112
        .size:           8
        .value_kind:     hidden_global_offset_y
      - .offset:         120
        .size:           8
        .value_kind:     hidden_global_offset_z
      - .offset:         128
        .size:           2
        .value_kind:     hidden_grid_dims
    .group_segment_fixed_size: 0
    .kernarg_segment_align: 8
    .kernarg_segment_size: 320
    .language:       OpenCL C
    .language_version:
      - 2
      - 0
    .max_flat_workgroup_size: 1024
    .name:           _ZN9rocsparseL17coomvt_aos_kernelILj1024Elf21rocsparse_complex_numIfES2_S2_EEv20rocsparse_operation_lNS_24const_host_device_scalarIT4_EEPKT0_PKT1_PKT2_PT3_21rocsparse_index_base_b
    .private_segment_fixed_size: 0
    .sgpr_count:     22
    .sgpr_spill_count: 0
    .symbol:         _ZN9rocsparseL17coomvt_aos_kernelILj1024Elf21rocsparse_complex_numIfES2_S2_EEv20rocsparse_operation_lNS_24const_host_device_scalarIT4_EEPKT0_PKT1_PKT2_PT3_21rocsparse_index_base_b.kd
    .uniform_work_group_size: 1
    .uses_dynamic_stack: false
    .vgpr_count:     9
    .vgpr_spill_count: 0
    .wavefront_size: 32
  - .args:
      - .offset:         0
        .size:           8
        .value_kind:     by_value
      - .offset:         8
        .size:           8
        .value_kind:     by_value
      - .offset:         16
        .size:           8
        .value_kind:     by_value
      - .actual_access:  read_only
        .address_space:  global
        .offset:         24
        .size:           8
        .value_kind:     global_buffer
      - .actual_access:  read_only
        .address_space:  global
        .offset:         32
        .size:           8
        .value_kind:     global_buffer
      - .actual_access:  read_only
        .address_space:  global
        .offset:         40
        .size:           8
        .value_kind:     global_buffer
      - .address_space:  global
        .offset:         48
        .size:           8
        .value_kind:     global_buffer
      - .actual_access:  write_only
        .address_space:  global
        .offset:         56
        .size:           8
        .value_kind:     global_buffer
      - .actual_access:  write_only
        .address_space:  global
        .offset:         64
        .size:           8
        .value_kind:     global_buffer
      - .offset:         72
        .size:           4
        .value_kind:     by_value
      - .offset:         76
        .size:           1
        .value_kind:     by_value
    .group_segment_fixed_size: 4096
    .kernarg_segment_align: 8
    .kernarg_segment_size: 80
    .language:       OpenCL C
    .language_version:
      - 2
      - 0
    .max_flat_workgroup_size: 256
    .name:           _ZN9rocsparseL26coomvn_aos_segmented_loopsILj256Elf21rocsparse_complex_numIfES2_S2_EEvlT0_NS_24const_host_device_scalarIT4_EEPKS3_PKT1_PKT2_PT3_PS3_PS5_21rocsparse_index_base_b
    .private_segment_fixed_size: 0
    .sgpr_count:     38
    .sgpr_spill_count: 0
    .symbol:         _ZN9rocsparseL26coomvn_aos_segmented_loopsILj256Elf21rocsparse_complex_numIfES2_S2_EEvlT0_NS_24const_host_device_scalarIT4_EEPKS3_PKT1_PKT2_PT3_PS3_PS5_21rocsparse_index_base_b.kd
    .uniform_work_group_size: 1
    .uses_dynamic_stack: false
    .vgpr_count:     44
    .vgpr_spill_count: 0
    .wavefront_size: 32
  - .args:
      - .offset:         0
        .size:           8
        .value_kind:     by_value
      - .offset:         8
        .size:           16
        .value_kind:     by_value
      - .actual_access:  read_only
        .address_space:  global
        .offset:         24
        .size:           8
        .value_kind:     global_buffer
      - .actual_access:  read_only
        .address_space:  global
        .offset:         32
        .size:           8
        .value_kind:     global_buffer
      - .actual_access:  read_only
        .address_space:  global
        .offset:         40
        .size:           8
        .value_kind:     global_buffer
      - .address_space:  global
        .offset:         48
        .size:           8
        .value_kind:     global_buffer
      - .offset:         56
        .size:           4
        .value_kind:     by_value
      - .offset:         60
        .size:           1
        .value_kind:     by_value
    .group_segment_fixed_size: 5120
    .kernarg_segment_align: 8
    .kernarg_segment_size: 64
    .language:       OpenCL C
    .language_version:
      - 2
      - 0
    .max_flat_workgroup_size: 256
    .name:           _ZN9rocsparseL23coomvn_aos_atomic_loopsILj256ELj1Eid21rocsparse_complex_numIdES2_S2_EEvlNS_24const_host_device_scalarIT5_EEPKT1_PKT2_PKT3_PT4_21rocsparse_index_base_b
    .private_segment_fixed_size: 0
    .sgpr_count:     14
    .sgpr_spill_count: 0
    .symbol:         _ZN9rocsparseL23coomvn_aos_atomic_loopsILj256ELj1Eid21rocsparse_complex_numIdES2_S2_EEvlNS_24const_host_device_scalarIT5_EEPKT1_PKT2_PKT3_PT4_21rocsparse_index_base_b.kd
    .uniform_work_group_size: 1
    .uses_dynamic_stack: false
    .vgpr_count:     18
    .vgpr_spill_count: 0
    .wavefront_size: 32
  - .args:
      - .offset:         0
        .size:           4
        .value_kind:     by_value
      - .offset:         8
        .size:           8
        .value_kind:     by_value
      - .offset:         16
        .size:           16
        .value_kind:     by_value
      - .actual_access:  read_only
        .address_space:  global
        .offset:         32
        .size:           8
        .value_kind:     global_buffer
      - .actual_access:  read_only
        .address_space:  global
        .offset:         40
        .size:           8
        .value_kind:     global_buffer
      - .actual_access:  read_only
        .address_space:  global
        .offset:         48
        .size:           8
        .value_kind:     global_buffer
      - .address_space:  global
        .offset:         56
        .size:           8
        .value_kind:     global_buffer
      - .offset:         64
        .size:           4
        .value_kind:     by_value
      - .offset:         68
        .size:           1
        .value_kind:     by_value
      - .offset:         72
        .size:           4
        .value_kind:     hidden_block_count_x
      - .offset:         76
        .size:           4
        .value_kind:     hidden_block_count_y
      - .offset:         80
        .size:           4
        .value_kind:     hidden_block_count_z
      - .offset:         84
        .size:           2
        .value_kind:     hidden_group_size_x
      - .offset:         86
        .size:           2
        .value_kind:     hidden_group_size_y
      - .offset:         88
        .size:           2
        .value_kind:     hidden_group_size_z
      - .offset:         90
        .size:           2
        .value_kind:     hidden_remainder_x
      - .offset:         92
        .size:           2
        .value_kind:     hidden_remainder_y
      - .offset:         94
        .size:           2
        .value_kind:     hidden_remainder_z
      - .offset:         112
        .size:           8
        .value_kind:     hidden_global_offset_x
      - .offset:         120
        .size:           8
        .value_kind:     hidden_global_offset_y
      - .offset:         128
        .size:           8
        .value_kind:     hidden_global_offset_z
      - .offset:         136
        .size:           2
        .value_kind:     hidden_grid_dims
    .group_segment_fixed_size: 0
    .kernarg_segment_align: 8
    .kernarg_segment_size: 328
    .language:       OpenCL C
    .language_version:
      - 2
      - 0
    .max_flat_workgroup_size: 1024
    .name:           _ZN9rocsparseL17coomvt_aos_kernelILj1024Eid21rocsparse_complex_numIdES2_S2_EEv20rocsparse_operation_lNS_24const_host_device_scalarIT4_EEPKT0_PKT1_PKT2_PT3_21rocsparse_index_base_b
    .private_segment_fixed_size: 0
    .sgpr_count:     22
    .sgpr_spill_count: 0
    .symbol:         _ZN9rocsparseL17coomvt_aos_kernelILj1024Eid21rocsparse_complex_numIdES2_S2_EEv20rocsparse_operation_lNS_24const_host_device_scalarIT4_EEPKT0_PKT1_PKT2_PT3_21rocsparse_index_base_b.kd
    .uniform_work_group_size: 1
    .uses_dynamic_stack: false
    .vgpr_count:     16
    .vgpr_spill_count: 0
    .wavefront_size: 32
  - .args:
      - .offset:         0
        .size:           8
        .value_kind:     by_value
      - .offset:         8
        .size:           4
        .value_kind:     by_value
      - .offset:         16
        .size:           16
        .value_kind:     by_value
      - .actual_access:  read_only
        .address_space:  global
        .offset:         32
        .size:           8
        .value_kind:     global_buffer
      - .actual_access:  read_only
        .address_space:  global
        .offset:         40
        .size:           8
        .value_kind:     global_buffer
      - .actual_access:  read_only
        .address_space:  global
        .offset:         48
        .size:           8
        .value_kind:     global_buffer
      - .address_space:  global
        .offset:         56
        .size:           8
        .value_kind:     global_buffer
      - .actual_access:  write_only
        .address_space:  global
        .offset:         64
        .size:           8
        .value_kind:     global_buffer
      - .actual_access:  write_only
        .address_space:  global
        .offset:         72
        .size:           8
        .value_kind:     global_buffer
      - .offset:         80
        .size:           4
        .value_kind:     by_value
      - .offset:         84
        .size:           1
        .value_kind:     by_value
    .group_segment_fixed_size: 5120
    .kernarg_segment_align: 8
    .kernarg_segment_size: 88
    .language:       OpenCL C
    .language_version:
      - 2
      - 0
    .max_flat_workgroup_size: 256
    .name:           _ZN9rocsparseL26coomvn_aos_segmented_loopsILj256Eid21rocsparse_complex_numIdES2_S2_EEvlT0_NS_24const_host_device_scalarIT4_EEPKS3_PKT1_PKT2_PT3_PS3_PS5_21rocsparse_index_base_b
    .private_segment_fixed_size: 0
    .sgpr_count:     32
    .sgpr_spill_count: 0
    .symbol:         _ZN9rocsparseL26coomvn_aos_segmented_loopsILj256Eid21rocsparse_complex_numIdES2_S2_EEvlT0_NS_24const_host_device_scalarIT4_EEPKS3_PKT1_PKT2_PT3_PS3_PS5_21rocsparse_index_base_b.kd
    .uniform_work_group_size: 1
    .uses_dynamic_stack: false
    .vgpr_count:     44
    .vgpr_spill_count: 0
    .wavefront_size: 32
  - .args:
      - .offset:         0
        .size:           8
        .value_kind:     by_value
      - .offset:         8
        .size:           16
        .value_kind:     by_value
      - .actual_access:  read_only
        .address_space:  global
        .offset:         24
        .size:           8
        .value_kind:     global_buffer
      - .actual_access:  read_only
        .address_space:  global
        .offset:         32
        .size:           8
        .value_kind:     global_buffer
      - .actual_access:  read_only
        .address_space:  global
        .offset:         40
        .size:           8
        .value_kind:     global_buffer
      - .address_space:  global
        .offset:         48
        .size:           8
        .value_kind:     global_buffer
      - .offset:         56
        .size:           4
        .value_kind:     by_value
      - .offset:         60
        .size:           1
        .value_kind:     by_value
    .group_segment_fixed_size: 6144
    .kernarg_segment_align: 8
    .kernarg_segment_size: 64
    .language:       OpenCL C
    .language_version:
      - 2
      - 0
    .max_flat_workgroup_size: 256
    .name:           _ZN9rocsparseL23coomvn_aos_atomic_loopsILj256ELj1Eld21rocsparse_complex_numIdES2_S2_EEvlNS_24const_host_device_scalarIT5_EEPKT1_PKT2_PKT3_PT4_21rocsparse_index_base_b
    .private_segment_fixed_size: 0
    .sgpr_count:     14
    .sgpr_spill_count: 0
    .symbol:         _ZN9rocsparseL23coomvn_aos_atomic_loopsILj256ELj1Eld21rocsparse_complex_numIdES2_S2_EEvlNS_24const_host_device_scalarIT5_EEPKT1_PKT2_PKT3_PT4_21rocsparse_index_base_b.kd
    .uniform_work_group_size: 1
    .uses_dynamic_stack: false
    .vgpr_count:     18
    .vgpr_spill_count: 0
    .wavefront_size: 32
  - .args:
      - .offset:         0
        .size:           4
        .value_kind:     by_value
      - .offset:         8
        .size:           8
        .value_kind:     by_value
      - .offset:         16
        .size:           16
        .value_kind:     by_value
      - .actual_access:  read_only
        .address_space:  global
        .offset:         32
        .size:           8
        .value_kind:     global_buffer
      - .actual_access:  read_only
        .address_space:  global
        .offset:         40
        .size:           8
        .value_kind:     global_buffer
      - .actual_access:  read_only
        .address_space:  global
        .offset:         48
        .size:           8
        .value_kind:     global_buffer
      - .address_space:  global
        .offset:         56
        .size:           8
        .value_kind:     global_buffer
      - .offset:         64
        .size:           4
        .value_kind:     by_value
      - .offset:         68
        .size:           1
        .value_kind:     by_value
      - .offset:         72
        .size:           4
        .value_kind:     hidden_block_count_x
      - .offset:         76
        .size:           4
        .value_kind:     hidden_block_count_y
      - .offset:         80
        .size:           4
        .value_kind:     hidden_block_count_z
      - .offset:         84
        .size:           2
        .value_kind:     hidden_group_size_x
      - .offset:         86
        .size:           2
        .value_kind:     hidden_group_size_y
      - .offset:         88
        .size:           2
        .value_kind:     hidden_group_size_z
      - .offset:         90
        .size:           2
        .value_kind:     hidden_remainder_x
      - .offset:         92
        .size:           2
        .value_kind:     hidden_remainder_y
      - .offset:         94
        .size:           2
        .value_kind:     hidden_remainder_z
      - .offset:         112
        .size:           8
        .value_kind:     hidden_global_offset_x
      - .offset:         120
        .size:           8
        .value_kind:     hidden_global_offset_y
      - .offset:         128
        .size:           8
        .value_kind:     hidden_global_offset_z
      - .offset:         136
        .size:           2
        .value_kind:     hidden_grid_dims
    .group_segment_fixed_size: 0
    .kernarg_segment_align: 8
    .kernarg_segment_size: 328
    .language:       OpenCL C
    .language_version:
      - 2
      - 0
    .max_flat_workgroup_size: 1024
    .name:           _ZN9rocsparseL17coomvt_aos_kernelILj1024Eld21rocsparse_complex_numIdES2_S2_EEv20rocsparse_operation_lNS_24const_host_device_scalarIT4_EEPKT0_PKT1_PKT2_PT3_21rocsparse_index_base_b
    .private_segment_fixed_size: 0
    .sgpr_count:     22
    .sgpr_spill_count: 0
    .symbol:         _ZN9rocsparseL17coomvt_aos_kernelILj1024Eld21rocsparse_complex_numIdES2_S2_EEv20rocsparse_operation_lNS_24const_host_device_scalarIT4_EEPKT0_PKT1_PKT2_PT3_21rocsparse_index_base_b.kd
    .uniform_work_group_size: 1
    .uses_dynamic_stack: false
    .vgpr_count:     16
    .vgpr_spill_count: 0
    .wavefront_size: 32
  - .args:
      - .offset:         0
        .size:           8
        .value_kind:     by_value
      - .offset:         8
        .size:           8
        .value_kind:     by_value
      - .offset:         16
        .size:           16
        .value_kind:     by_value
      - .actual_access:  read_only
        .address_space:  global
        .offset:         32
        .size:           8
        .value_kind:     global_buffer
      - .actual_access:  read_only
        .address_space:  global
        .offset:         40
        .size:           8
        .value_kind:     global_buffer
      - .actual_access:  read_only
        .address_space:  global
        .offset:         48
        .size:           8
        .value_kind:     global_buffer
      - .address_space:  global
        .offset:         56
        .size:           8
        .value_kind:     global_buffer
      - .actual_access:  write_only
        .address_space:  global
        .offset:         64
        .size:           8
        .value_kind:     global_buffer
      - .actual_access:  write_only
        .address_space:  global
        .offset:         72
        .size:           8
        .value_kind:     global_buffer
      - .offset:         80
        .size:           4
        .value_kind:     by_value
      - .offset:         84
        .size:           1
        .value_kind:     by_value
    .group_segment_fixed_size: 6144
    .kernarg_segment_align: 8
    .kernarg_segment_size: 88
    .language:       OpenCL C
    .language_version:
      - 2
      - 0
    .max_flat_workgroup_size: 256
    .name:           _ZN9rocsparseL26coomvn_aos_segmented_loopsILj256Eld21rocsparse_complex_numIdES2_S2_EEvlT0_NS_24const_host_device_scalarIT4_EEPKS3_PKT1_PKT2_PT3_PS3_PS5_21rocsparse_index_base_b
    .private_segment_fixed_size: 0
    .sgpr_count:     38
    .sgpr_spill_count: 0
    .symbol:         _ZN9rocsparseL26coomvn_aos_segmented_loopsILj256Eld21rocsparse_complex_numIdES2_S2_EEvlT0_NS_24const_host_device_scalarIT4_EEPKS3_PKT1_PKT2_PT3_PS3_PS5_21rocsparse_index_base_b.kd
    .uniform_work_group_size: 1
    .uses_dynamic_stack: false
    .vgpr_count:     46
    .vgpr_spill_count: 0
    .wavefront_size: 32
  - .args:
      - .offset:         0
        .size:           8
        .value_kind:     by_value
      - .offset:         8
        .size:           8
        .value_kind:     by_value
      - .actual_access:  read_only
        .address_space:  global
        .offset:         16
        .size:           8
        .value_kind:     global_buffer
      - .actual_access:  read_only
        .address_space:  global
        .offset:         24
        .size:           8
        .value_kind:     global_buffer
      - .actual_access:  read_only
        .address_space:  global
        .offset:         32
        .size:           8
        .value_kind:     global_buffer
      - .address_space:  global
        .offset:         40
        .size:           8
        .value_kind:     global_buffer
      - .offset:         48
        .size:           4
        .value_kind:     by_value
      - .offset:         52
        .size:           1
        .value_kind:     by_value
    .group_segment_fixed_size: 3072
    .kernarg_segment_align: 8
    .kernarg_segment_size: 56
    .language:       OpenCL C
    .language_version:
      - 2
      - 0
    .max_flat_workgroup_size: 256
    .name:           _ZN9rocsparseL23coomvn_aos_atomic_loopsILj256ELj1EifdddEEvlNS_24const_host_device_scalarIT5_EEPKT1_PKT2_PKT3_PT4_21rocsparse_index_base_b
    .private_segment_fixed_size: 0
    .sgpr_count:     10
    .sgpr_spill_count: 0
    .symbol:         _ZN9rocsparseL23coomvn_aos_atomic_loopsILj256ELj1EifdddEEvlNS_24const_host_device_scalarIT5_EEPKT1_PKT2_PKT3_PT4_21rocsparse_index_base_b.kd
    .uniform_work_group_size: 1
    .uses_dynamic_stack: false
    .vgpr_count:     10
    .vgpr_spill_count: 0
    .wavefront_size: 32
  - .args:
      - .offset:         0
        .size:           4
        .value_kind:     by_value
      - .offset:         8
        .size:           8
        .value_kind:     by_value
      - .offset:         16
        .size:           8
        .value_kind:     by_value
      - .actual_access:  read_only
        .address_space:  global
        .offset:         24
        .size:           8
        .value_kind:     global_buffer
      - .actual_access:  read_only
        .address_space:  global
        .offset:         32
        .size:           8
        .value_kind:     global_buffer
      - .actual_access:  read_only
        .address_space:  global
        .offset:         40
        .size:           8
        .value_kind:     global_buffer
      - .address_space:  global
        .offset:         48
        .size:           8
        .value_kind:     global_buffer
      - .offset:         56
        .size:           4
        .value_kind:     by_value
      - .offset:         60
        .size:           1
        .value_kind:     by_value
      - .offset:         64
        .size:           4
        .value_kind:     hidden_block_count_x
      - .offset:         68
        .size:           4
        .value_kind:     hidden_block_count_y
      - .offset:         72
        .size:           4
        .value_kind:     hidden_block_count_z
      - .offset:         76
        .size:           2
        .value_kind:     hidden_group_size_x
      - .offset:         78
        .size:           2
        .value_kind:     hidden_group_size_y
      - .offset:         80
        .size:           2
        .value_kind:     hidden_group_size_z
      - .offset:         82
        .size:           2
        .value_kind:     hidden_remainder_x
      - .offset:         84
        .size:           2
        .value_kind:     hidden_remainder_y
      - .offset:         86
        .size:           2
        .value_kind:     hidden_remainder_z
      - .offset:         104
        .size:           8
        .value_kind:     hidden_global_offset_x
      - .offset:         112
        .size:           8
        .value_kind:     hidden_global_offset_y
      - .offset:         120
        .size:           8
        .value_kind:     hidden_global_offset_z
      - .offset:         128
        .size:           2
        .value_kind:     hidden_grid_dims
    .group_segment_fixed_size: 0
    .kernarg_segment_align: 8
    .kernarg_segment_size: 320
    .language:       OpenCL C
    .language_version:
      - 2
      - 0
    .max_flat_workgroup_size: 1024
    .name:           _ZN9rocsparseL17coomvt_aos_kernelILj1024EifdddEEv20rocsparse_operation_lNS_24const_host_device_scalarIT4_EEPKT0_PKT1_PKT2_PT3_21rocsparse_index_base_b
    .private_segment_fixed_size: 0
    .sgpr_count:     14
    .sgpr_spill_count: 0
    .symbol:         _ZN9rocsparseL17coomvt_aos_kernelILj1024EifdddEEv20rocsparse_operation_lNS_24const_host_device_scalarIT4_EEPKT0_PKT1_PKT2_PT3_21rocsparse_index_base_b.kd
    .uniform_work_group_size: 1
    .uses_dynamic_stack: false
    .vgpr_count:     8
    .vgpr_spill_count: 0
    .wavefront_size: 32
  - .args:
      - .offset:         0
        .size:           8
        .value_kind:     by_value
      - .offset:         8
        .size:           4
        .value_kind:     by_value
      - .offset:         16
        .size:           8
        .value_kind:     by_value
      - .actual_access:  read_only
        .address_space:  global
        .offset:         24
        .size:           8
        .value_kind:     global_buffer
      - .actual_access:  read_only
        .address_space:  global
        .offset:         32
        .size:           8
        .value_kind:     global_buffer
      - .actual_access:  read_only
        .address_space:  global
        .offset:         40
        .size:           8
        .value_kind:     global_buffer
      - .address_space:  global
        .offset:         48
        .size:           8
        .value_kind:     global_buffer
      - .actual_access:  write_only
        .address_space:  global
        .offset:         56
        .size:           8
        .value_kind:     global_buffer
      - .actual_access:  write_only
        .address_space:  global
        .offset:         64
        .size:           8
        .value_kind:     global_buffer
      - .offset:         72
        .size:           4
        .value_kind:     by_value
      - .offset:         76
        .size:           1
        .value_kind:     by_value
    .group_segment_fixed_size: 3072
    .kernarg_segment_align: 8
    .kernarg_segment_size: 80
    .language:       OpenCL C
    .language_version:
      - 2
      - 0
    .max_flat_workgroup_size: 256
    .name:           _ZN9rocsparseL26coomvn_aos_segmented_loopsILj256EifdddEEvlT0_NS_24const_host_device_scalarIT4_EEPKS1_PKT1_PKT2_PT3_PS1_PS3_21rocsparse_index_base_b
    .private_segment_fixed_size: 0
    .sgpr_count:     28
    .sgpr_spill_count: 0
    .symbol:         _ZN9rocsparseL26coomvn_aos_segmented_loopsILj256EifdddEEvlT0_NS_24const_host_device_scalarIT4_EEPKS1_PKT1_PKT2_PT3_PS1_PS3_21rocsparse_index_base_b.kd
    .uniform_work_group_size: 1
    .uses_dynamic_stack: false
    .vgpr_count:     36
    .vgpr_spill_count: 0
    .wavefront_size: 32
  - .args:
      - .offset:         0
        .size:           8
        .value_kind:     by_value
      - .offset:         8
        .size:           8
        .value_kind:     by_value
      - .actual_access:  read_only
        .address_space:  global
        .offset:         16
        .size:           8
        .value_kind:     global_buffer
      - .actual_access:  read_only
        .address_space:  global
        .offset:         24
        .size:           8
        .value_kind:     global_buffer
      - .actual_access:  read_only
        .address_space:  global
        .offset:         32
        .size:           8
        .value_kind:     global_buffer
      - .address_space:  global
        .offset:         40
        .size:           8
        .value_kind:     global_buffer
      - .offset:         48
        .size:           4
        .value_kind:     by_value
      - .offset:         52
        .size:           1
        .value_kind:     by_value
    .group_segment_fixed_size: 4096
    .kernarg_segment_align: 8
    .kernarg_segment_size: 56
    .language:       OpenCL C
    .language_version:
      - 2
      - 0
    .max_flat_workgroup_size: 256
    .name:           _ZN9rocsparseL23coomvn_aos_atomic_loopsILj256ELj1ElfdddEEvlNS_24const_host_device_scalarIT5_EEPKT1_PKT2_PKT3_PT4_21rocsparse_index_base_b
    .private_segment_fixed_size: 0
    .sgpr_count:     14
    .sgpr_spill_count: 0
    .symbol:         _ZN9rocsparseL23coomvn_aos_atomic_loopsILj256ELj1ElfdddEEvlNS_24const_host_device_scalarIT5_EEPKT1_PKT2_PKT3_PT4_21rocsparse_index_base_b.kd
    .uniform_work_group_size: 1
    .uses_dynamic_stack: false
    .vgpr_count:     12
    .vgpr_spill_count: 0
    .wavefront_size: 32
  - .args:
      - .offset:         0
        .size:           4
        .value_kind:     by_value
      - .offset:         8
        .size:           8
        .value_kind:     by_value
      - .offset:         16
        .size:           8
        .value_kind:     by_value
      - .actual_access:  read_only
        .address_space:  global
        .offset:         24
        .size:           8
        .value_kind:     global_buffer
      - .actual_access:  read_only
        .address_space:  global
        .offset:         32
        .size:           8
        .value_kind:     global_buffer
      - .actual_access:  read_only
        .address_space:  global
        .offset:         40
        .size:           8
        .value_kind:     global_buffer
      - .address_space:  global
        .offset:         48
        .size:           8
        .value_kind:     global_buffer
      - .offset:         56
        .size:           4
        .value_kind:     by_value
      - .offset:         60
        .size:           1
        .value_kind:     by_value
      - .offset:         64
        .size:           4
        .value_kind:     hidden_block_count_x
      - .offset:         68
        .size:           4
        .value_kind:     hidden_block_count_y
      - .offset:         72
        .size:           4
        .value_kind:     hidden_block_count_z
      - .offset:         76
        .size:           2
        .value_kind:     hidden_group_size_x
      - .offset:         78
        .size:           2
        .value_kind:     hidden_group_size_y
      - .offset:         80
        .size:           2
        .value_kind:     hidden_group_size_z
      - .offset:         82
        .size:           2
        .value_kind:     hidden_remainder_x
      - .offset:         84
        .size:           2
        .value_kind:     hidden_remainder_y
      - .offset:         86
        .size:           2
        .value_kind:     hidden_remainder_z
      - .offset:         104
        .size:           8
        .value_kind:     hidden_global_offset_x
      - .offset:         112
        .size:           8
        .value_kind:     hidden_global_offset_y
      - .offset:         120
        .size:           8
        .value_kind:     hidden_global_offset_z
      - .offset:         128
        .size:           2
        .value_kind:     hidden_grid_dims
    .group_segment_fixed_size: 0
    .kernarg_segment_align: 8
    .kernarg_segment_size: 320
    .language:       OpenCL C
    .language_version:
      - 2
      - 0
    .max_flat_workgroup_size: 1024
    .name:           _ZN9rocsparseL17coomvt_aos_kernelILj1024ElfdddEEv20rocsparse_operation_lNS_24const_host_device_scalarIT4_EEPKT0_PKT1_PKT2_PT3_21rocsparse_index_base_b
    .private_segment_fixed_size: 0
    .sgpr_count:     14
    .sgpr_spill_count: 0
    .symbol:         _ZN9rocsparseL17coomvt_aos_kernelILj1024ElfdddEEv20rocsparse_operation_lNS_24const_host_device_scalarIT4_EEPKT0_PKT1_PKT2_PT3_21rocsparse_index_base_b.kd
    .uniform_work_group_size: 1
    .uses_dynamic_stack: false
    .vgpr_count:     9
    .vgpr_spill_count: 0
    .wavefront_size: 32
  - .args:
      - .offset:         0
        .size:           8
        .value_kind:     by_value
      - .offset:         8
        .size:           8
        .value_kind:     by_value
      - .offset:         16
        .size:           8
        .value_kind:     by_value
      - .actual_access:  read_only
        .address_space:  global
        .offset:         24
        .size:           8
        .value_kind:     global_buffer
      - .actual_access:  read_only
        .address_space:  global
        .offset:         32
        .size:           8
        .value_kind:     global_buffer
      - .actual_access:  read_only
        .address_space:  global
        .offset:         40
        .size:           8
        .value_kind:     global_buffer
      - .address_space:  global
        .offset:         48
        .size:           8
        .value_kind:     global_buffer
      - .actual_access:  write_only
        .address_space:  global
        .offset:         56
        .size:           8
        .value_kind:     global_buffer
      - .actual_access:  write_only
        .address_space:  global
        .offset:         64
        .size:           8
        .value_kind:     global_buffer
      - .offset:         72
        .size:           4
        .value_kind:     by_value
      - .offset:         76
        .size:           1
        .value_kind:     by_value
    .group_segment_fixed_size: 4096
    .kernarg_segment_align: 8
    .kernarg_segment_size: 80
    .language:       OpenCL C
    .language_version:
      - 2
      - 0
    .max_flat_workgroup_size: 256
    .name:           _ZN9rocsparseL26coomvn_aos_segmented_loopsILj256ElfdddEEvlT0_NS_24const_host_device_scalarIT4_EEPKS1_PKT1_PKT2_PT3_PS1_PS3_21rocsparse_index_base_b
    .private_segment_fixed_size: 0
    .sgpr_count:     38
    .sgpr_spill_count: 0
    .symbol:         _ZN9rocsparseL26coomvn_aos_segmented_loopsILj256ElfdddEEvlT0_NS_24const_host_device_scalarIT4_EEPKS1_PKT1_PKT2_PT3_PS1_PS3_21rocsparse_index_base_b.kd
    .uniform_work_group_size: 1
    .uses_dynamic_stack: false
    .vgpr_count:     38
    .vgpr_spill_count: 0
    .wavefront_size: 32
  - .args:
      - .offset:         0
        .size:           8
        .value_kind:     by_value
      - .offset:         8
        .size:           16
        .value_kind:     by_value
      - .actual_access:  read_only
        .address_space:  global
        .offset:         24
        .size:           8
        .value_kind:     global_buffer
      - .actual_access:  read_only
        .address_space:  global
        .offset:         32
        .size:           8
        .value_kind:     global_buffer
      - .actual_access:  read_only
        .address_space:  global
        .offset:         40
        .size:           8
        .value_kind:     global_buffer
      - .address_space:  global
        .offset:         48
        .size:           8
        .value_kind:     global_buffer
      - .offset:         56
        .size:           4
        .value_kind:     by_value
      - .offset:         60
        .size:           1
        .value_kind:     by_value
    .group_segment_fixed_size: 5120
    .kernarg_segment_align: 8
    .kernarg_segment_size: 64
    .language:       OpenCL C
    .language_version:
      - 2
      - 0
    .max_flat_workgroup_size: 256
    .name:           _ZN9rocsparseL23coomvn_aos_atomic_loopsILj256ELj1Ei21rocsparse_complex_numIfES1_IdES3_S3_EEvlNS_24const_host_device_scalarIT5_EEPKT1_PKT2_PKT3_PT4_21rocsparse_index_base_b
    .private_segment_fixed_size: 0
    .sgpr_count:     14
    .sgpr_spill_count: 0
    .symbol:         _ZN9rocsparseL23coomvn_aos_atomic_loopsILj256ELj1Ei21rocsparse_complex_numIfES1_IdES3_S3_EEvlNS_24const_host_device_scalarIT5_EEPKT1_PKT2_PKT3_PT4_21rocsparse_index_base_b.kd
    .uniform_work_group_size: 1
    .uses_dynamic_stack: false
    .vgpr_count:     20
    .vgpr_spill_count: 0
    .wavefront_size: 32
  - .args:
      - .offset:         0
        .size:           4
        .value_kind:     by_value
      - .offset:         8
        .size:           8
        .value_kind:     by_value
      - .offset:         16
        .size:           16
        .value_kind:     by_value
      - .actual_access:  read_only
        .address_space:  global
        .offset:         32
        .size:           8
        .value_kind:     global_buffer
      - .actual_access:  read_only
        .address_space:  global
        .offset:         40
        .size:           8
        .value_kind:     global_buffer
      - .actual_access:  read_only
        .address_space:  global
        .offset:         48
        .size:           8
        .value_kind:     global_buffer
      - .address_space:  global
        .offset:         56
        .size:           8
        .value_kind:     global_buffer
      - .offset:         64
        .size:           4
        .value_kind:     by_value
      - .offset:         68
        .size:           1
        .value_kind:     by_value
      - .offset:         72
        .size:           4
        .value_kind:     hidden_block_count_x
      - .offset:         76
        .size:           4
        .value_kind:     hidden_block_count_y
      - .offset:         80
        .size:           4
        .value_kind:     hidden_block_count_z
      - .offset:         84
        .size:           2
        .value_kind:     hidden_group_size_x
      - .offset:         86
        .size:           2
        .value_kind:     hidden_group_size_y
      - .offset:         88
        .size:           2
        .value_kind:     hidden_group_size_z
      - .offset:         90
        .size:           2
        .value_kind:     hidden_remainder_x
      - .offset:         92
        .size:           2
        .value_kind:     hidden_remainder_y
      - .offset:         94
        .size:           2
        .value_kind:     hidden_remainder_z
      - .offset:         112
        .size:           8
        .value_kind:     hidden_global_offset_x
      - .offset:         120
        .size:           8
        .value_kind:     hidden_global_offset_y
      - .offset:         128
        .size:           8
        .value_kind:     hidden_global_offset_z
      - .offset:         136
        .size:           2
        .value_kind:     hidden_grid_dims
    .group_segment_fixed_size: 0
    .kernarg_segment_align: 8
    .kernarg_segment_size: 328
    .language:       OpenCL C
    .language_version:
      - 2
      - 0
    .max_flat_workgroup_size: 1024
    .name:           _ZN9rocsparseL17coomvt_aos_kernelILj1024Ei21rocsparse_complex_numIfES1_IdES3_S3_EEv20rocsparse_operation_lNS_24const_host_device_scalarIT4_EEPKT0_PKT1_PKT2_PT3_21rocsparse_index_base_b
    .private_segment_fixed_size: 0
    .sgpr_count:     16
    .sgpr_spill_count: 0
    .symbol:         _ZN9rocsparseL17coomvt_aos_kernelILj1024Ei21rocsparse_complex_numIfES1_IdES3_S3_EEv20rocsparse_operation_lNS_24const_host_device_scalarIT4_EEPKT0_PKT1_PKT2_PT3_21rocsparse_index_base_b.kd
    .uniform_work_group_size: 1
    .uses_dynamic_stack: false
    .vgpr_count:     16
    .vgpr_spill_count: 0
    .wavefront_size: 32
  - .args:
      - .offset:         0
        .size:           8
        .value_kind:     by_value
      - .offset:         8
        .size:           4
        .value_kind:     by_value
      - .offset:         16
        .size:           16
        .value_kind:     by_value
      - .actual_access:  read_only
        .address_space:  global
        .offset:         32
        .size:           8
        .value_kind:     global_buffer
      - .actual_access:  read_only
        .address_space:  global
        .offset:         40
        .size:           8
        .value_kind:     global_buffer
      - .actual_access:  read_only
        .address_space:  global
        .offset:         48
        .size:           8
        .value_kind:     global_buffer
      - .address_space:  global
        .offset:         56
        .size:           8
        .value_kind:     global_buffer
      - .actual_access:  write_only
        .address_space:  global
        .offset:         64
        .size:           8
        .value_kind:     global_buffer
      - .actual_access:  write_only
        .address_space:  global
        .offset:         72
        .size:           8
        .value_kind:     global_buffer
      - .offset:         80
        .size:           4
        .value_kind:     by_value
      - .offset:         84
        .size:           1
        .value_kind:     by_value
    .group_segment_fixed_size: 5120
    .kernarg_segment_align: 8
    .kernarg_segment_size: 88
    .language:       OpenCL C
    .language_version:
      - 2
      - 0
    .max_flat_workgroup_size: 256
    .name:           _ZN9rocsparseL26coomvn_aos_segmented_loopsILj256Ei21rocsparse_complex_numIfES1_IdES3_S3_EEvlT0_NS_24const_host_device_scalarIT4_EEPKS4_PKT1_PKT2_PT3_PS4_PS6_21rocsparse_index_base_b
    .private_segment_fixed_size: 0
    .sgpr_count:     32
    .sgpr_spill_count: 0
    .symbol:         _ZN9rocsparseL26coomvn_aos_segmented_loopsILj256Ei21rocsparse_complex_numIfES1_IdES3_S3_EEvlT0_NS_24const_host_device_scalarIT4_EEPKS4_PKT1_PKT2_PT3_PS4_PS6_21rocsparse_index_base_b.kd
    .uniform_work_group_size: 1
    .uses_dynamic_stack: false
    .vgpr_count:     46
    .vgpr_spill_count: 0
    .wavefront_size: 32
  - .args:
      - .offset:         0
        .size:           8
        .value_kind:     by_value
      - .offset:         8
        .size:           16
        .value_kind:     by_value
      - .actual_access:  read_only
        .address_space:  global
        .offset:         24
        .size:           8
        .value_kind:     global_buffer
      - .actual_access:  read_only
        .address_space:  global
        .offset:         32
        .size:           8
        .value_kind:     global_buffer
      - .actual_access:  read_only
        .address_space:  global
        .offset:         40
        .size:           8
        .value_kind:     global_buffer
      - .address_space:  global
        .offset:         48
        .size:           8
        .value_kind:     global_buffer
      - .offset:         56
        .size:           4
        .value_kind:     by_value
      - .offset:         60
        .size:           1
        .value_kind:     by_value
    .group_segment_fixed_size: 6144
    .kernarg_segment_align: 8
    .kernarg_segment_size: 64
    .language:       OpenCL C
    .language_version:
      - 2
      - 0
    .max_flat_workgroup_size: 256
    .name:           _ZN9rocsparseL23coomvn_aos_atomic_loopsILj256ELj1El21rocsparse_complex_numIfES1_IdES3_S3_EEvlNS_24const_host_device_scalarIT5_EEPKT1_PKT2_PKT3_PT4_21rocsparse_index_base_b
    .private_segment_fixed_size: 0
    .sgpr_count:     14
    .sgpr_spill_count: 0
    .symbol:         _ZN9rocsparseL23coomvn_aos_atomic_loopsILj256ELj1El21rocsparse_complex_numIfES1_IdES3_S3_EEvlNS_24const_host_device_scalarIT5_EEPKT1_PKT2_PKT3_PT4_21rocsparse_index_base_b.kd
    .uniform_work_group_size: 1
    .uses_dynamic_stack: false
    .vgpr_count:     20
    .vgpr_spill_count: 0
    .wavefront_size: 32
  - .args:
      - .offset:         0
        .size:           4
        .value_kind:     by_value
      - .offset:         8
        .size:           8
        .value_kind:     by_value
      - .offset:         16
        .size:           16
        .value_kind:     by_value
      - .actual_access:  read_only
        .address_space:  global
        .offset:         32
        .size:           8
        .value_kind:     global_buffer
      - .actual_access:  read_only
        .address_space:  global
        .offset:         40
        .size:           8
        .value_kind:     global_buffer
      - .actual_access:  read_only
        .address_space:  global
        .offset:         48
        .size:           8
        .value_kind:     global_buffer
      - .address_space:  global
        .offset:         56
        .size:           8
        .value_kind:     global_buffer
      - .offset:         64
        .size:           4
        .value_kind:     by_value
      - .offset:         68
        .size:           1
        .value_kind:     by_value
      - .offset:         72
        .size:           4
        .value_kind:     hidden_block_count_x
      - .offset:         76
        .size:           4
        .value_kind:     hidden_block_count_y
      - .offset:         80
        .size:           4
        .value_kind:     hidden_block_count_z
      - .offset:         84
        .size:           2
        .value_kind:     hidden_group_size_x
      - .offset:         86
        .size:           2
        .value_kind:     hidden_group_size_y
      - .offset:         88
        .size:           2
        .value_kind:     hidden_group_size_z
      - .offset:         90
        .size:           2
        .value_kind:     hidden_remainder_x
      - .offset:         92
        .size:           2
        .value_kind:     hidden_remainder_y
      - .offset:         94
        .size:           2
        .value_kind:     hidden_remainder_z
      - .offset:         112
        .size:           8
        .value_kind:     hidden_global_offset_x
      - .offset:         120
        .size:           8
        .value_kind:     hidden_global_offset_y
      - .offset:         128
        .size:           8
        .value_kind:     hidden_global_offset_z
      - .offset:         136
        .size:           2
        .value_kind:     hidden_grid_dims
    .group_segment_fixed_size: 0
    .kernarg_segment_align: 8
    .kernarg_segment_size: 328
    .language:       OpenCL C
    .language_version:
      - 2
      - 0
    .max_flat_workgroup_size: 1024
    .name:           _ZN9rocsparseL17coomvt_aos_kernelILj1024El21rocsparse_complex_numIfES1_IdES3_S3_EEv20rocsparse_operation_lNS_24const_host_device_scalarIT4_EEPKT0_PKT1_PKT2_PT3_21rocsparse_index_base_b
    .private_segment_fixed_size: 0
    .sgpr_count:     16
    .sgpr_spill_count: 0
    .symbol:         _ZN9rocsparseL17coomvt_aos_kernelILj1024El21rocsparse_complex_numIfES1_IdES3_S3_EEv20rocsparse_operation_lNS_24const_host_device_scalarIT4_EEPKT0_PKT1_PKT2_PT3_21rocsparse_index_base_b.kd
    .uniform_work_group_size: 1
    .uses_dynamic_stack: false
    .vgpr_count:     16
    .vgpr_spill_count: 0
    .wavefront_size: 32
  - .args:
      - .offset:         0
        .size:           8
        .value_kind:     by_value
      - .offset:         8
        .size:           8
        .value_kind:     by_value
      - .offset:         16
        .size:           16
        .value_kind:     by_value
      - .actual_access:  read_only
        .address_space:  global
        .offset:         32
        .size:           8
        .value_kind:     global_buffer
      - .actual_access:  read_only
        .address_space:  global
        .offset:         40
        .size:           8
        .value_kind:     global_buffer
      - .actual_access:  read_only
        .address_space:  global
        .offset:         48
        .size:           8
        .value_kind:     global_buffer
      - .address_space:  global
        .offset:         56
        .size:           8
        .value_kind:     global_buffer
      - .actual_access:  write_only
        .address_space:  global
        .offset:         64
        .size:           8
        .value_kind:     global_buffer
      - .actual_access:  write_only
        .address_space:  global
        .offset:         72
        .size:           8
        .value_kind:     global_buffer
      - .offset:         80
        .size:           4
        .value_kind:     by_value
      - .offset:         84
        .size:           1
        .value_kind:     by_value
    .group_segment_fixed_size: 6144
    .kernarg_segment_align: 8
    .kernarg_segment_size: 88
    .language:       OpenCL C
    .language_version:
      - 2
      - 0
    .max_flat_workgroup_size: 256
    .name:           _ZN9rocsparseL26coomvn_aos_segmented_loopsILj256El21rocsparse_complex_numIfES1_IdES3_S3_EEvlT0_NS_24const_host_device_scalarIT4_EEPKS4_PKT1_PKT2_PT3_PS4_PS6_21rocsparse_index_base_b
    .private_segment_fixed_size: 0
    .sgpr_count:     38
    .sgpr_spill_count: 0
    .symbol:         _ZN9rocsparseL26coomvn_aos_segmented_loopsILj256El21rocsparse_complex_numIfES1_IdES3_S3_EEvlT0_NS_24const_host_device_scalarIT4_EEPKS4_PKT1_PKT2_PT3_PS4_PS6_21rocsparse_index_base_b.kd
    .uniform_work_group_size: 1
    .uses_dynamic_stack: false
    .vgpr_count:     46
    .vgpr_spill_count: 0
    .wavefront_size: 32
amdhsa.target:   amdgcn-amd-amdhsa--gfx1250
amdhsa.version:
  - 1
  - 2
...

	.end_amdgpu_metadata
